;; amdgpu-corpus repo=ROCm/rocFFT kind=compiled arch=gfx1201 opt=O3
	.text
	.amdgcn_target "amdgcn-amd-amdhsa--gfx1201"
	.amdhsa_code_object_version 6
	.protected	fft_rtc_back_len169_factors_13_13_wgs_156_tpt_13_sp_op_CI_CI_sbrc_erc_z_xy_unaligned ; -- Begin function fft_rtc_back_len169_factors_13_13_wgs_156_tpt_13_sp_op_CI_CI_sbrc_erc_z_xy_unaligned
	.globl	fft_rtc_back_len169_factors_13_13_wgs_156_tpt_13_sp_op_CI_CI_sbrc_erc_z_xy_unaligned
	.p2align	8
	.type	fft_rtc_back_len169_factors_13_13_wgs_156_tpt_13_sp_op_CI_CI_sbrc_erc_z_xy_unaligned,@function
fft_rtc_back_len169_factors_13_13_wgs_156_tpt_13_sp_op_CI_CI_sbrc_erc_z_xy_unaligned: ; @fft_rtc_back_len169_factors_13_13_wgs_156_tpt_13_sp_op_CI_CI_sbrc_erc_z_xy_unaligned
; %bb.0:
	s_clause 0x1
	s_load_b256 s[4:11], s[0:1], 0x0
	s_load_b64 s[20:21], s[0:1], 0x20
	v_and_b32_e32 v3, 0xffff, v0
	s_wait_kmcnt 0x0
	s_load_b128 s[12:15], s[8:9], 0x8
	s_load_b32 s28, s[10:11], 0x10
	s_wait_kmcnt 0x0
	s_add_co_i32 s2, s12, -1
	s_delay_alu instid0(SALU_CYCLE_1) | instskip(NEXT) | instid1(SALU_CYCLE_1)
	s_mul_hi_u32 s2, s2, 0xaaaaaaab
	s_lshr_b32 s2, s2, 3
	s_delay_alu instid0(SALU_CYCLE_1) | instskip(NEXT) | instid1(SALU_CYCLE_1)
	s_add_co_i32 s3, s2, 1
	s_mul_i32 s8, s3, s14
	s_cvt_f32_u32 s13, s3
	s_cvt_f32_u32 s9, s8
	s_sub_co_i32 s14, 0, s8
	s_delay_alu instid0(SALU_CYCLE_2) | instskip(NEXT) | instid1(TRANS32_DEP_1)
	v_rcp_iflag_f32_e32 v1, s9
	v_readfirstlane_b32 s9, v1
	v_rcp_iflag_f32_e32 v1, s13
	s_delay_alu instid0(VALU_DEP_1) | instskip(SKIP_1) | instid1(SALU_CYCLE_2)
	s_mul_f32 s9, s9, 0x4f7ffffe
	s_wait_alu 0xfffe
	s_cvt_u32_f32 s9, s9
	s_wait_alu 0xfffe
	s_delay_alu instid0(SALU_CYCLE_2) | instskip(NEXT) | instid1(SALU_CYCLE_1)
	s_mul_i32 s14, s14, s9
	s_mul_hi_u32 s13, s9, s14
	s_delay_alu instid0(TRANS32_DEP_1)
	v_readfirstlane_b32 s14, v1
	s_wait_alu 0xfffe
	s_add_co_i32 s9, s9, s13
	s_wait_alu 0xfffe
	s_mul_hi_u32 s9, ttmp9, s9
	s_mul_f32 s14, s14, 0x4f7ffffe
	s_wait_alu 0xfffe
	s_mul_i32 s13, s9, s8
	s_add_co_i32 s15, s9, 1
	s_wait_alu 0xfffe
	s_sub_co_i32 s13, ttmp9, s13
	s_wait_alu 0xfffe
	s_sub_co_i32 s16, s13, s8
	s_cmp_ge_u32 s13, s8
	s_cselect_b32 s9, s15, s9
	s_cselect_b32 s13, s16, s13
	s_load_b128 s[16:19], s[10:11], 0x0
	s_add_co_i32 s15, s9, 1
	s_cmp_ge_u32 s13, s8
	s_cvt_u32_f32 s13, s14
	s_cselect_b32 s14, s15, s9
	s_not_b32 s2, s2
	s_mul_i32 s8, s14, s8
	s_wait_alu 0xfffe
	s_mul_i32 s2, s2, s13
	s_sub_co_i32 s8, ttmp9, s8
	s_mul_hi_u32 s2, s13, s2
	s_delay_alu instid0(SALU_CYCLE_1)
	s_add_co_i32 s13, s13, s2
	s_wait_alu 0xfffe
	s_mul_hi_u32 s2, s8, s13
	s_mul_hi_u32 s13, ttmp9, s13
	s_mul_i32 s9, s2, s3
	s_wait_alu 0xfffe
	s_sub_co_i32 s8, s8, s9
	s_add_co_i32 s9, s2, 1
	s_wait_alu 0xfffe
	s_sub_co_i32 s15, s8, s3
	s_cmp_ge_u32 s8, s3
	s_cselect_b32 s2, s9, s2
	s_cselect_b32 s8, s15, s8
	s_add_co_i32 s9, s2, 1
	s_wait_alu 0xfffe
	s_cmp_ge_u32 s8, s3
	s_mul_i32 s8, s13, s3
	s_cselect_b32 s13, s9, s2
	s_wait_alu 0xfffe
	s_sub_co_i32 s2, ttmp9, s8
	s_mov_b32 s15, 0
	s_sub_co_i32 s8, s2, s3
	s_cmp_ge_u32 s2, s3
	s_mov_b32 s29, s15
	s_wait_alu 0xfffe
	s_cselect_b32 s2, s8, s2
	s_delay_alu instid0(SALU_CYCLE_1)
	s_sub_co_i32 s8, s2, s3
	s_cmp_ge_u32 s2, s3
	s_wait_kmcnt 0x0
	s_wait_alu 0xfffe
	s_cselect_b32 s19, s8, s2
	s_lshl_b64 s[24:25], s[6:7], 3
	s_mul_i32 s6, s19, 12
	s_add_nc_u64 s[2:3], s[10:11], s[24:25]
	s_load_b64 s[26:27], s[2:3], 0x0
	s_load_b64 s[22:23], s[0:1], 0x58
	s_clause 0x1
	s_load_b128 s[8:11], s[20:21], 0x0
	s_load_b64 s[2:3], s[20:21], 0x10
	s_wait_kmcnt 0x0
	s_mul_i32 s3, s13, s28
	s_mul_i32 s11, s6, s18
	s_add_co_i32 s19, s6, 12
	s_add_co_i32 s28, s11, s3
	s_cmp_le_u32 s19, s12
	s_add_nc_u64 s[20:21], s[20:21], s[24:25]
	s_cselect_b32 s3, -1, 0
	s_mov_b32 s7, -1
	s_and_b32 vcc_lo, exec_lo, s3
	s_mul_u64 s[24:25], s[26:27], s[14:15]
	s_delay_alu instid0(SALU_CYCLE_1)
	s_add_nc_u64 s[24:25], s[24:25], s[28:29]
	s_cbranch_vccz .LBB0_2
; %bb.1:
	v_add_nc_u16 v6, v0, 0x138
	v_add_nc_u16 v1, v0, 0x9c
	v_mul_u32_u24_e32 v2, 0x184, v3
	v_add_nc_u16 v17, v0, 0x270
	v_add_nc_u16 v15, v0, 0x1d4
	v_and_b32_e32 v5, 0xffff, v6
	v_and_b32_e32 v4, 0xffff, v1
	v_lshrrev_b32_e32 v37, 16, v2
	v_dual_mov_b32 v2, 0 :: v_dual_and_b32 v9, 0xffff, v17
	s_delay_alu instid0(VALU_DEP_4) | instskip(NEXT) | instid1(VALU_DEP_4)
	v_mul_u32_u24_e32 v5, 0x184, v5
	v_mul_u32_u24_e32 v4, 0x184, v4
	s_delay_alu instid0(VALU_DEP_4)
	v_mul_lo_u16 v7, 0xa9, v37
	s_lshl_b64 s[26:27], s[24:25], 3
	v_mul_u32_u24_e32 v16, 0x184, v9
	v_lshrrev_b32_e32 v39, 16, v5
	v_lshrrev_b32_e32 v38, 16, v4
	v_sub_nc_u16 v4, v0, v7
	v_and_b32_e32 v7, 0xffff, v15
	s_add_nc_u64 s[26:27], s[22:23], s[26:27]
	v_mul_lo_u16 v8, 0xa9, v39
	v_mul_lo_u16 v5, 0xa9, v38
	v_lshrrev_b32_e32 v44, 16, v16
	v_add_nc_u16 v23, v0, 0x4e0
	v_add_nc_u16 v24, v0, 0x57c
	v_sub_nc_u16 v6, v6, v8
	v_sub_nc_u16 v10, v1, v5
	v_mul_lo_u32 v1, s18, v37
	v_add_nc_u16 v27, v0, 0x618
	v_and_b32_e32 v26, 0xffff, v24
	v_and_b32_e32 v42, 0xffff, v6
	;; [unrolled: 1-line block ×3, first 2 shown]
	v_mul_u32_u24_e32 v10, 0x184, v7
	v_add_nc_u16 v28, v0, 0x750
	s_mov_b32 s7, s15
	v_mad_co_u64_u32 v[8:9], null, s16, v42, 0
	v_and_b32_e32 v40, 0xffff, v4
	v_mad_co_u64_u32 v[6:7], null, s16, v41, 0
	v_lshrrev_b32_e32 v43, 16, v10
	v_lshlrev_b64_e32 v[10:11], 3, v[1:2]
	s_delay_alu instid0(VALU_DEP_4) | instskip(SKIP_1) | instid1(VALU_DEP_4)
	v_mad_co_u64_u32 v[4:5], null, s16, v40, 0
	v_mul_lo_u32 v1, s18, v38
	v_mul_lo_u16 v18, 0xa9, v43
	v_and_b32_e32 v31, 0xffff, v28
	s_delay_alu instid0(VALU_DEP_4) | instskip(SKIP_4) | instid1(VALU_DEP_4)
	v_mad_co_u64_u32 v[12:13], null, s17, v40, v[5:6]
	v_mov_b32_e32 v5, v7
	v_mov_b32_e32 v7, v9
	v_sub_nc_u16 v9, v15, v18
	v_add_nc_u16 v18, v0, 0x444
	v_mad_co_u64_u32 v[13:14], null, s17, v41, v[5:6]
	v_mov_b32_e32 v5, v12
	v_mad_co_u64_u32 v[14:15], null, s17, v42, v[7:8]
	v_and_b32_e32 v45, 0xffff, v9
	v_lshlrev_b64_e32 v[15:16], 3, v[1:2]
	s_delay_alu instid0(VALU_DEP_4) | instskip(SKIP_1) | instid1(VALU_DEP_4)
	v_lshlrev_b64_e32 v[4:5], 3, v[4:5]
	v_dual_mov_b32 v7, v13 :: v_dual_and_b32 v20, 0xffff, v18
	v_mad_co_u64_u32 v[12:13], null, s16, v45, 0
	s_delay_alu instid0(VALU_DEP_2) | instskip(NEXT) | instid1(VALU_DEP_4)
	v_lshlrev_b64_e32 v[6:7], 3, v[6:7]
	v_add_co_u32 v1, vcc_lo, s26, v4
	v_add_co_ci_u32_e32 v5, vcc_lo, s27, v5, vcc_lo
	s_delay_alu instid0(VALU_DEP_3) | instskip(SKIP_1) | instid1(VALU_DEP_4)
	v_add_co_u32 v6, vcc_lo, s26, v6
	s_wait_alu 0xfffd
	v_add_co_ci_u32_e32 v7, vcc_lo, s27, v7, vcc_lo
	v_add_co_u32 v4, vcc_lo, v1, v10
	v_mov_b32_e32 v1, v13
	v_mul_lo_u16 v13, 0xa9, v44
	s_wait_alu 0xfffd
	v_add_co_ci_u32_e32 v5, vcc_lo, v5, v11, vcc_lo
	v_add_co_u32 v6, vcc_lo, v6, v15
	v_mad_co_u64_u32 v[10:11], null, s17, v45, v[1:2]
	v_sub_nc_u16 v11, v17, v13
	v_mov_b32_e32 v9, v14
	s_wait_alu 0xfffd
	v_add_co_ci_u32_e32 v7, vcc_lo, v7, v16, vcc_lo
	v_add_nc_u16 v16, v0, 0x30c
	v_and_b32_e32 v46, 0xffff, v11
	v_lshlrev_b64_e32 v[8:9], 3, v[8:9]
	v_mul_lo_u32 v1, s18, v39
	s_delay_alu instid0(VALU_DEP_4) | instskip(NEXT) | instid1(VALU_DEP_3)
	v_dual_mov_b32 v13, v10 :: v_dual_and_b32 v14, 0xffff, v16
	v_add_co_u32 v15, vcc_lo, s26, v8
	s_delay_alu instid0(VALU_DEP_2)
	v_mul_u32_u24_e32 v14, 0xc1f, v14
	s_wait_alu 0xfffd
	v_add_co_ci_u32_e32 v17, vcc_lo, s27, v9, vcc_lo
	v_lshlrev_b64_e32 v[8:9], 3, v[1:2]
	v_mul_lo_u32 v1, s18, v43
	v_lshrrev_b32_e32 v47, 19, v14
	v_lshlrev_b64_e32 v[10:11], 3, v[12:13]
	v_mad_co_u64_u32 v[12:13], null, s16, v46, 0
	v_add_co_u32 v8, vcc_lo, v15, v8
	s_wait_alu 0xfffd
	v_add_co_ci_u32_e32 v9, vcc_lo, v17, v9, vcc_lo
	v_mul_lo_u16 v17, 0xa9, v47
	v_lshlrev_b64_e32 v[14:15], 3, v[1:2]
	v_mov_b32_e32 v1, v13
	v_add_co_u32 v10, vcc_lo, s26, v10
	s_delay_alu instid0(VALU_DEP_4) | instskip(SKIP_4) | instid1(VALU_DEP_3)
	v_sub_nc_u16 v13, v16, v17
	v_add_nc_u16 v17, v0, 0x3a8
	s_wait_alu 0xfffd
	v_add_co_ci_u32_e32 v11, vcc_lo, s27, v11, vcc_lo
	v_add_co_u32 v10, vcc_lo, v10, v14
	v_and_b32_e32 v16, 0xffff, v17
	v_and_b32_e32 v48, 0xffff, v13
	v_mad_co_u64_u32 v[13:14], null, s17, v46, v[1:2]
	s_wait_alu 0xfffd
	v_add_co_ci_u32_e32 v11, vcc_lo, v11, v15, vcc_lo
	v_mul_u32_u24_e32 v1, 0xc1f, v16
	v_mad_co_u64_u32 v[14:15], null, s16, v48, 0
	s_clause 0x3
	global_load_b64 v[4:5], v[4:5], off
	global_load_b64 v[6:7], v[6:7], off
	;; [unrolled: 1-line block ×4, first 2 shown]
	v_lshlrev_b64_e32 v[12:13], 3, v[12:13]
	v_lshrrev_b32_e32 v49, 19, v1
	v_mul_lo_u32 v1, s18, v44
	v_mad_co_u64_u32 v[15:16], null, s17, v48, v[15:16]
	s_delay_alu instid0(VALU_DEP_3) | instskip(NEXT) | instid1(VALU_DEP_1)
	v_mul_lo_u16 v19, 0xa9, v49
	v_sub_nc_u16 v16, v17, v19
	v_mul_u32_u24_e32 v17, 0xc1f, v20
	v_add_co_u32 v19, vcc_lo, s26, v12
	s_wait_alu 0xfffd
	v_add_co_ci_u32_e32 v20, vcc_lo, s27, v13, vcc_lo
	s_delay_alu instid0(VALU_DEP_3)
	v_lshrrev_b32_e32 v51, 19, v17
	v_lshlrev_b64_e32 v[12:13], 3, v[1:2]
	v_mul_lo_u32 v1, s18, v47
	v_and_b32_e32 v50, 0xffff, v16
	v_lshlrev_b64_e32 v[14:15], 3, v[14:15]
	v_mul_lo_u16 v21, 0xa9, v51
	v_add_co_u32 v12, vcc_lo, v19, v12
	s_wait_alu 0xfffd
	v_add_co_ci_u32_e32 v13, vcc_lo, v20, v13, vcc_lo
	s_delay_alu instid0(VALU_DEP_3) | instskip(SKIP_3) | instid1(VALU_DEP_4)
	v_sub_nc_u16 v20, v18, v21
	v_mad_co_u64_u32 v[16:17], null, s16, v50, 0
	v_lshlrev_b64_e32 v[18:19], 3, v[1:2]
	v_and_b32_e32 v1, 0xffff, v23
	v_and_b32_e32 v52, 0xffff, v20
	v_add_co_u32 v14, vcc_lo, s26, v14
	s_wait_alu 0xfffd
	v_add_co_ci_u32_e32 v15, vcc_lo, s27, v15, vcc_lo
	v_mad_co_u64_u32 v[20:21], null, s17, v50, v[17:18]
	v_mad_co_u64_u32 v[21:22], null, s16, v52, 0
	v_mul_u32_u24_e32 v1, 0xc1f, v1
	v_add_co_u32 v14, vcc_lo, v14, v18
	s_wait_alu 0xfffd
	v_add_co_ci_u32_e32 v15, vcc_lo, v15, v19, vcc_lo
	s_delay_alu instid0(VALU_DEP_4) | instskip(SKIP_2) | instid1(VALU_DEP_3)
	v_dual_mov_b32 v17, v20 :: v_dual_mov_b32 v18, v22
	v_lshrrev_b32_e32 v53, 19, v1
	v_mul_lo_u32 v1, s18, v49
	v_lshlrev_b64_e32 v[16:17], 3, v[16:17]
	s_delay_alu instid0(VALU_DEP_4) | instskip(NEXT) | instid1(VALU_DEP_4)
	v_mad_co_u64_u32 v[18:19], null, s17, v52, v[18:19]
	v_mul_lo_u16 v20, 0xa9, v53
	s_delay_alu instid0(VALU_DEP_1) | instskip(NEXT) | instid1(VALU_DEP_4)
	v_sub_nc_u16 v19, v23, v20
	v_add_co_u32 v23, vcc_lo, s26, v16
	s_delay_alu instid0(VALU_DEP_4)
	v_mov_b32_e32 v22, v18
	s_wait_alu 0xfffd
	v_add_co_ci_u32_e32 v25, vcc_lo, s27, v17, vcc_lo
	v_lshlrev_b64_e32 v[16:17], 3, v[1:2]
	v_mul_lo_u32 v1, s18, v51
	v_lshlrev_b64_e32 v[20:21], 3, v[21:22]
	v_mul_u32_u24_e32 v22, 0xc1f, v26
	v_and_b32_e32 v54, 0xffff, v19
	v_add_co_u32 v16, vcc_lo, v23, v16
	s_wait_alu 0xfffd
	v_add_co_ci_u32_e32 v17, vcc_lo, v25, v17, vcc_lo
	v_lshrrev_b32_e32 v55, 19, v22
	v_mad_co_u64_u32 v[18:19], null, s16, v54, 0
	v_add_co_u32 v25, vcc_lo, s26, v20
	s_wait_alu 0xfffd
	v_add_co_ci_u32_e32 v26, vcc_lo, s27, v21, vcc_lo
	v_lshlrev_b64_e32 v[20:21], 3, v[1:2]
	v_mul_lo_u16 v1, 0xa9, v55
	s_delay_alu instid0(VALU_DEP_2) | instskip(NEXT) | instid1(VALU_DEP_2)
	v_mad_co_u64_u32 v[22:23], null, s17, v54, v[19:20]
	v_sub_nc_u16 v23, v24, v1
	v_and_b32_e32 v24, 0xffff, v27
	v_add_co_u32 v19, vcc_lo, v25, v20
	s_wait_alu 0xfffd
	v_add_co_ci_u32_e32 v20, vcc_lo, v26, v21, vcc_lo
	s_delay_alu instid0(VALU_DEP_3)
	v_mul_u32_u24_e32 v24, 0xc1f, v24
	v_add_nc_u16 v26, v0, 0x6b4
	s_clause 0x3
	global_load_b64 v[12:13], v[12:13], off
	global_load_b64 v[14:15], v[14:15], off
	;; [unrolled: 1-line block ×4, first 2 shown]
	v_dual_mov_b32 v19, v22 :: v_dual_and_b32 v56, 0xffff, v23
	v_lshrrev_b32_e32 v57, 19, v24
	v_and_b32_e32 v24, 0xffff, v26
	v_mul_lo_u32 v1, s18, v53
	s_delay_alu instid0(VALU_DEP_4) | instskip(SKIP_3) | instid1(VALU_DEP_4)
	v_lshlrev_b64_e32 v[18:19], 3, v[18:19]
	v_mad_co_u64_u32 v[22:23], null, s16, v56, 0
	v_mul_lo_u16 v30, 0xa9, v57
	v_mul_u32_u24_e32 v24, 0xc1f, v24
	v_add_co_u32 v25, vcc_lo, s26, v18
	s_wait_alu 0xfffd
	v_add_co_ci_u32_e32 v29, vcc_lo, s27, v19, vcc_lo
	v_lshlrev_b64_e32 v[18:19], 3, v[1:2]
	v_mov_b32_e32 v1, v23
	v_sub_nc_u16 v27, v27, v30
	v_lshrrev_b32_e32 v58, 19, v24
	v_mul_u32_u24_e32 v30, 0xc1f, v31
	s_delay_alu instid0(VALU_DEP_4) | instskip(NEXT) | instid1(VALU_DEP_3)
	v_mad_co_u64_u32 v[23:24], null, s17, v56, v[1:2]
	v_mul_lo_u16 v1, 0xa9, v58
	s_delay_alu instid0(VALU_DEP_3) | instskip(SKIP_2) | instid1(VALU_DEP_4)
	v_lshrrev_b32_e32 v60, 19, v30
	v_and_b32_e32 v59, 0xffff, v27
	v_add_co_u32 v18, vcc_lo, v25, v18
	v_sub_nc_u16 v26, v26, v1
	s_delay_alu instid0(VALU_DEP_4) | instskip(NEXT) | instid1(VALU_DEP_4)
	v_mul_lo_u16 v27, 0xa9, v60
	v_mad_co_u64_u32 v[24:25], null, s16, v59, 0
	s_wait_alu 0xfffd
	v_add_co_ci_u32_e32 v19, vcc_lo, v29, v19, vcc_lo
	s_delay_alu instid0(VALU_DEP_3)
	v_sub_nc_u16 v27, v28, v27
	v_and_b32_e32 v61, 0xffff, v26
	v_lshlrev_b64_e32 v[22:23], 3, v[22:23]
	v_mul_lo_u32 v1, s18, v55
	global_load_b64 v[18:19], v[18:19], off
	v_and_b32_e32 v62, 0xffff, v27
	v_mad_co_u64_u32 v[26:27], null, s16, v61, 0
	v_add_co_u32 v33, vcc_lo, s26, v22
	s_wait_alu 0xfffd
	v_add_co_ci_u32_e32 v34, vcc_lo, s27, v23, vcc_lo
	v_lshlrev_b64_e32 v[31:32], 3, v[1:2]
	v_mul_lo_u32 v1, s18, v57
	v_mad_co_u64_u32 v[28:29], null, s17, v59, v[25:26]
	v_mad_co_u64_u32 v[29:30], null, s16, v62, 0
	v_mov_b32_e32 v22, v27
	v_add_co_u32 v31, vcc_lo, v33, v31
	s_wait_alu 0xfffd
	v_add_co_ci_u32_e32 v32, vcc_lo, v34, v32, vcc_lo
	v_mov_b32_e32 v25, v28
	v_mad_co_u64_u32 v[22:23], null, s17, v61, v[22:23]
	v_mov_b32_e32 v23, v30
	v_lshlrev_b64_e32 v[33:34], 3, v[1:2]
	s_delay_alu instid0(VALU_DEP_4) | instskip(SKIP_2) | instid1(VALU_DEP_3)
	v_lshlrev_b64_e32 v[24:25], 3, v[24:25]
	v_mul_lo_u32 v1, s18, v58
	v_mov_b32_e32 v27, v22
	v_mad_co_u64_u32 v[35:36], null, s17, v62, v[23:24]
	v_add_co_u32 v24, vcc_lo, s26, v24
	s_wait_alu 0xfffd
	v_add_co_ci_u32_e32 v25, vcc_lo, s27, v25, vcc_lo
	v_lshlrev_b64_e32 v[22:23], 3, v[26:27]
	v_lshlrev_b64_e32 v[26:27], 3, v[1:2]
	v_mov_b32_e32 v30, v35
	v_mul_lo_u32 v1, s18, v60
	v_add_co_u32 v24, vcc_lo, v24, v33
	s_wait_alu 0xfffd
	v_add_co_ci_u32_e32 v25, vcc_lo, v25, v34, vcc_lo
	v_lshlrev_b64_e32 v[28:29], 3, v[29:30]
	v_add_co_u32 v22, vcc_lo, s26, v22
	s_wait_alu 0xfffd
	v_add_co_ci_u32_e32 v23, vcc_lo, s27, v23, vcc_lo
	v_lshlrev_b64_e32 v[1:2], 3, v[1:2]
	s_delay_alu instid0(VALU_DEP_4)
	v_add_co_u32 v28, vcc_lo, s26, v28
	s_wait_alu 0xfffd
	v_add_co_ci_u32_e32 v29, vcc_lo, s27, v29, vcc_lo
	v_add_co_u32 v22, vcc_lo, v22, v26
	s_wait_alu 0xfffd
	v_add_co_ci_u32_e32 v23, vcc_lo, v23, v27, vcc_lo
	;; [unrolled: 3-line block ×3, first 2 shown]
	s_clause 0x3
	global_load_b64 v[26:27], v[31:32], off
	global_load_b64 v[24:25], v[24:25], off
	;; [unrolled: 1-line block ×4, first 2 shown]
	v_mul_u32_u24_e32 v28, 0x550, v37
	v_lshlrev_b32_e32 v29, 3, v40
	v_mul_u32_u24_e32 v30, 0x550, v38
	v_lshlrev_b32_e32 v31, 3, v41
	;; [unrolled: 2-line block ×3, first 2 shown]
	v_add3_u32 v28, 0, v28, v29
	s_delay_alu instid0(VALU_DEP_4) | instskip(SKIP_1) | instid1(VALU_DEP_4)
	v_add3_u32 v29, 0, v30, v31
	v_mul_u32_u24_e32 v31, 0x550, v43
	v_add3_u32 v30, 0, v32, v33
	v_lshlrev_b32_e32 v32, 3, v45
	s_wait_loadcnt 0xc
	ds_store_b64 v28, v[4:5]
	s_wait_loadcnt 0xb
	ds_store_b64 v29, v[6:7]
	;; [unrolled: 2-line block ×3, first 2 shown]
	v_add3_u32 v4, 0, v31, v32
	v_mul_u32_u24_e32 v5, 0x550, v44
	v_lshlrev_b32_e32 v6, 3, v46
	v_mul_u32_u24_e32 v7, 0x550, v47
	v_lshlrev_b32_e32 v8, 3, v48
	;; [unrolled: 2-line block ×4, first 2 shown]
	s_wait_loadcnt 0x9
	ds_store_b64 v4, v[10:11]
	v_add3_u32 v4, 0, v5, v6
	v_add3_u32 v5, 0, v7, v8
	;; [unrolled: 1-line block ×3, first 2 shown]
	v_mul_u32_u24_e32 v8, 0x550, v53
	v_lshlrev_b32_e32 v9, 3, v54
	v_add3_u32 v7, 0, v29, v30
	v_mul_u32_u24_e32 v11, 0x550, v60
	v_lshlrev_b32_e32 v10, 3, v61
	s_wait_loadcnt 0x8
	ds_store_b64 v4, v[12:13]
	s_wait_loadcnt 0x7
	ds_store_b64 v5, v[14:15]
	;; [unrolled: 2-line block ×4, first 2 shown]
	v_add3_u32 v4, 0, v8, v9
	v_mul_u32_u24_e32 v5, 0x550, v55
	v_lshlrev_b32_e32 v6, 3, v56
	v_lshlrev_b32_e32 v12, 3, v62
	v_mul_u32_u24_e32 v7, 0x550, v57
	v_lshlrev_b32_e32 v8, 3, v59
	v_mul_u32_u24_e32 v9, 0x550, v58
	v_add3_u32 v5, 0, v5, v6
	s_delay_alu instid0(VALU_DEP_3) | instskip(NEXT) | instid1(VALU_DEP_3)
	v_add3_u32 v6, 0, v7, v8
	v_add3_u32 v7, 0, v9, v10
	s_wait_loadcnt 0x4
	ds_store_b64 v4, v[18:19]
	v_add3_u32 v4, 0, v11, v12
	s_wait_loadcnt 0x3
	ds_store_b64 v5, v[26:27]
	s_wait_loadcnt 0x2
	ds_store_b64 v6, v[24:25]
	;; [unrolled: 2-line block ×4, first 2 shown]
.LBB0_2:
	s_load_b64 s[20:21], s[20:21], 0x0
	s_and_not1_b32 vcc_lo, exec_lo, s7
	s_wait_alu 0xfffe
	s_cbranch_vccnz .LBB0_6
; %bb.3:
	v_mov_b32_e32 v2, 0
	v_mov_b32_e32 v4, v0
	s_lshl_b64 s[24:25], s[24:25], 3
	s_mov_b32 s7, 0
	s_add_nc_u64 s[22:23], s[22:23], s[24:25]
.LBB0_4:                                ; =>This Inner Loop Header: Depth=1
	s_delay_alu instid0(VALU_DEP_1) | instskip(NEXT) | instid1(VALU_DEP_1)
	v_and_b32_e32 v1, 0xffff, v4
	v_mul_u32_u24_e32 v1, 0xc1e5, v1
	s_delay_alu instid0(VALU_DEP_1) | instskip(NEXT) | instid1(VALU_DEP_1)
	v_lshrrev_b32_e32 v9, 23, v1
	v_mul_lo_u16 v1, 0xa9, v9
	s_delay_alu instid0(VALU_DEP_1) | instskip(SKIP_1) | instid1(VALU_DEP_2)
	v_sub_nc_u16 v1, v4, v1
	v_add_nc_u32_e32 v4, 0x9c, v4
	v_and_b32_e32 v10, 0xffff, v1
	s_delay_alu instid0(VALU_DEP_1) | instskip(NEXT) | instid1(VALU_DEP_1)
	v_mad_co_u64_u32 v[5:6], null, s16, v10, 0
	v_mov_b32_e32 v1, v6
	s_delay_alu instid0(VALU_DEP_1) | instskip(SKIP_1) | instid1(VALU_DEP_2)
	v_mad_co_u64_u32 v[6:7], null, s17, v10, v[1:2]
	v_mul_lo_u32 v1, v9, s18
	v_lshlrev_b64_e32 v[5:6], 3, v[5:6]
	s_delay_alu instid0(VALU_DEP_2) | instskip(NEXT) | instid1(VALU_DEP_2)
	v_lshlrev_b64_e32 v[7:8], 3, v[1:2]
	v_add_co_u32 v1, vcc_lo, s22, v5
	s_wait_alu 0xfffd
	s_delay_alu instid0(VALU_DEP_3) | instskip(NEXT) | instid1(VALU_DEP_2)
	v_add_co_ci_u32_e32 v6, vcc_lo, s23, v6, vcc_lo
	v_add_co_u32 v5, vcc_lo, v1, v7
	s_wait_alu 0xfffd
	s_delay_alu instid0(VALU_DEP_2)
	v_add_co_ci_u32_e32 v6, vcc_lo, v6, v8, vcc_lo
	v_mul_u32_u24_e32 v1, 0x550, v9
	v_lshlrev_b32_e32 v7, 3, v10
	v_cmp_lt_u32_e32 vcc_lo, 0x7eb, v4
	global_load_b64 v[5:6], v[5:6], off
	v_add3_u32 v1, 0, v1, v7
	s_or_b32 s7, vcc_lo, s7
	s_wait_loadcnt 0x0
	ds_store_b64 v1, v[5:6]
	s_and_not1_b32 exec_lo, exec_lo, s7
	s_cbranch_execnz .LBB0_4
; %bb.5:
	s_or_b32 exec_lo, exec_lo, s7
.LBB0_6:
	v_mul_u32_u24_e32 v1, 0x13b2, v3
	v_mul_hi_u32 v3, 0x13b13b14, v0
	global_wb scope:SCOPE_SE
	s_wait_dscnt 0x0
	s_wait_kmcnt 0x0
	s_barrier_signal -1
	s_barrier_wait -1
	v_lshrrev_b32_e32 v1, 16, v1
	global_inv scope:SCOPE_SE
	s_load_b64 s[0:1], s[0:1], 0x60
	s_mul_u64 s[14:15], s[20:21], s[14:15]
	v_mul_u32_u24_e32 v3, 13, v3
	v_add_nc_u32_e32 v1, s6, v1
	s_and_not1_b32 vcc_lo, exec_lo, s3
	s_delay_alu instid0(VALU_DEP_2) | instskip(NEXT) | instid1(VALU_DEP_2)
	v_sub_nc_u32_e32 v13, v0, v3
	v_mul_hi_u32 v2, 0xaaaaaaab, v1
	s_delay_alu instid0(VALU_DEP_1) | instskip(NEXT) | instid1(VALU_DEP_1)
	v_lshrrev_b32_e32 v2, 3, v2
	v_mul_lo_u32 v2, v2, 12
	s_delay_alu instid0(VALU_DEP_1) | instskip(SKIP_1) | instid1(VALU_DEP_2)
	v_sub_nc_u32_e32 v1, v1, v2
	v_lshlrev_b32_e32 v2, 3, v13
	v_mul_u32_u24_e32 v1, 0xaa, v1
	s_delay_alu instid0(VALU_DEP_1) | instskip(NEXT) | instid1(VALU_DEP_1)
	v_lshlrev_b32_e32 v1, 3, v1
	v_add3_u32 v11, 0, v2, v1
	ds_load_2addr_b64 v[15:18], v11 offset0:13 offset1:26
	ds_load_2addr_b64 v[19:22], v11 offset0:143 offset1:156
	s_wait_dscnt 0x0
	v_sub_f32_e32 v34, v16, v22
	v_dual_sub_f32 v37, v17, v19 :: v_dual_add_nc_u32 v14, 0, v1
	v_dual_add_f32 v31, v21, v15 :: v_dual_add_f32 v32, v22, v16
	s_delay_alu instid0(VALU_DEP_2)
	v_dual_sub_f32 v33, v15, v21 :: v_dual_add_nc_u32 v12, v14, v2
	v_dual_add_f32 v35, v19, v17 :: v_dual_add_f32 v36, v20, v18
	v_mad_u32_u24 v14, 0x68, v13, v14
	ds_load_b64 v[9:10], v12
	ds_load_2addr_b64 v[23:26], v11 offset0:39 offset1:52
	ds_load_2addr_b64 v[1:4], v11 offset0:65 offset1:78
	;; [unrolled: 1-line block ×4, first 2 shown]
	v_sub_f32_e32 v38, v18, v20
	v_mul_f32_e32 v50, 0x3f116cb1, v36
	global_wb scope:SCOPE_SE
	s_wait_dscnt 0x0
	s_wait_kmcnt 0x0
	s_barrier_signal -1
	s_barrier_wait -1
	global_inv scope:SCOPE_SE
	v_mul_f32_e32 v39, 0xbeedf032, v34
	v_dual_add_f32 v15, v9, v15 :: v_dual_add_f32 v16, v10, v16
	v_mul_f32_e32 v40, 0x3f62ad3f, v32
	v_mul_f32_e32 v49, 0xbf52af12, v38
	s_delay_alu instid0(VALU_DEP_3) | instskip(NEXT) | instid1(VALU_DEP_4)
	v_dual_mul_f32 v42, 0x3f116cb1, v32 :: v_dual_add_f32 v15, v15, v17
	v_dual_add_f32 v16, v16, v18 :: v_dual_fmamk_f32 v17, v31, 0x3f62ad3f, v39
	v_mul_f32_e32 v44, 0x3df6dbef, v32
	v_mul_f32_e32 v46, 0xbeb58ec6, v32
	v_fma_f32 v39, 0x3f62ad3f, v31, -v39
	v_mul_f32_e32 v48, 0xbf3f9e67, v32
	v_dual_fmamk_f32 v55, v33, 0x3f52af12, v42 :: v_dual_add_f32 v16, v16, v24
	v_add_f32_e32 v15, v15, v23
	v_mul_f32_e32 v43, 0xbf7e222b, v34
	v_add_f32_e32 v17, v9, v17
	v_mul_f32_e32 v45, 0xbf6f5d39, v34
	v_dual_mul_f32 v41, 0xbf52af12, v34 :: v_dual_fmac_f32 v42, 0xbf52af12, v33
	v_fmamk_f32 v57, v33, 0x3f7e222b, v44
	v_fmamk_f32 v18, v33, 0x3eedf032, v40
	v_fmac_f32_e32 v44, 0xbf7e222b, v33
	v_fmamk_f32 v59, v33, 0x3f6f5d39, v46
	v_dual_fmac_f32 v46, 0xbf6f5d39, v33 :: v_dual_add_f32 v39, v9, v39
	v_mul_f32_e32 v47, 0xbf29c268, v34
	v_dual_mul_f32 v34, 0xbe750f2a, v34 :: v_dual_add_f32 v15, v15, v25
	v_dual_fmamk_f32 v61, v33, 0x3f29c268, v48 :: v_dual_add_f32 v16, v16, v26
	v_fmamk_f32 v58, v31, 0xbeb58ec6, v45
	v_fma_f32 v45, 0xbeb58ec6, v31, -v45
	v_fmamk_f32 v56, v31, 0x3df6dbef, v43
	v_fma_f32 v43, 0x3df6dbef, v31, -v43
	v_fmac_f32_e32 v40, 0xbeedf032, v33
	v_dual_mul_f32 v32, 0xbf788fa5, v32 :: v_dual_add_f32 v55, v10, v55
	v_dual_mul_f32 v52, 0xbeb58ec6, v36 :: v_dual_add_f32 v15, v15, v1
	s_delay_alu instid0(VALU_DEP_3)
	v_dual_add_f32 v43, v9, v43 :: v_dual_add_f32 v40, v10, v40
	v_dual_fmamk_f32 v54, v31, 0x3f116cb1, v41 :: v_dual_add_f32 v59, v10, v59
	v_fma_f32 v41, 0x3f116cb1, v31, -v41
	v_fmac_f32_e32 v48, 0xbf29c268, v33
	v_fmamk_f32 v60, v31, 0xbf3f9e67, v47
	v_fma_f32 v47, 0xbf3f9e67, v31, -v47
	v_dual_fmamk_f32 v63, v33, 0x3e750f2a, v32 :: v_dual_add_f32 v42, v10, v42
	v_fmamk_f32 v62, v31, 0xbf788fa5, v34
	v_fma_f32 v31, 0xbf788fa5, v31, -v34
	v_add_f32_e32 v41, v9, v41
	s_delay_alu instid0(VALU_DEP_4) | instskip(SKIP_4) | instid1(VALU_DEP_4)
	v_dual_add_f32 v63, v10, v63 :: v_dual_fmamk_f32 v34, v37, 0x3f52af12, v50
	v_add_f32_e32 v15, v15, v3
	v_dual_fmamk_f32 v65, v37, 0x3f6f5d39, v52 :: v_dual_add_f32 v16, v16, v2
	v_add_f32_e32 v54, v9, v54
	v_add_f32_e32 v45, v9, v45
	v_dual_add_f32 v15, v15, v5 :: v_dual_add_f32 v56, v9, v56
	v_dual_mul_f32 v53, 0xbe750f2a, v38 :: v_dual_fmac_f32 v32, 0xbe750f2a, v33
	s_delay_alu instid0(VALU_DEP_2) | instskip(SKIP_2) | instid1(VALU_DEP_2)
	v_dual_fmac_f32 v50, 0xbf52af12, v37 :: v_dual_add_f32 v15, v15, v7
	v_dual_add_f32 v16, v16, v4 :: v_dual_fmamk_f32 v33, v35, 0x3f116cb1, v49
	v_dual_mul_f32 v51, 0xbf6f5d39, v38 :: v_dual_fmac_f32 v52, 0xbf6f5d39, v37
	v_dual_add_f32 v15, v15, v27 :: v_dual_add_f32 v16, v16, v6
	s_delay_alu instid0(VALU_DEP_3) | instskip(SKIP_1) | instid1(VALU_DEP_4)
	v_add_f32_e32 v17, v33, v17
	v_fma_f32 v49, 0x3f116cb1, v35, -v49
	v_dual_fmamk_f32 v64, v35, 0xbeb58ec6, v51 :: v_dual_add_f32 v31, v9, v31
	s_delay_alu instid0(VALU_DEP_4) | instskip(SKIP_3) | instid1(VALU_DEP_4)
	v_add_f32_e32 v16, v16, v8
	v_fma_f32 v51, 0xbeb58ec6, v35, -v51
	v_add_f32_e32 v44, v10, v44
	v_dual_add_f32 v61, v10, v61 :: v_dual_add_f32 v58, v9, v58
	v_dual_add_f32 v47, v9, v47 :: v_dual_add_f32 v16, v16, v28
	v_add_f32_e32 v60, v9, v60
	v_dual_add_f32 v62, v9, v62 :: v_dual_add_f32 v33, v51, v41
	v_dual_add_f32 v9, v15, v29 :: v_dual_add_f32 v46, v10, v46
	v_add_f32_e32 v57, v10, v57
	v_add_f32_e32 v18, v10, v18
	v_fma_f32 v41, 0xbf788fa5, v35, -v53
	s_delay_alu instid0(VALU_DEP_4) | instskip(SKIP_1) | instid1(VALU_DEP_3)
	v_dual_add_f32 v9, v9, v19 :: v_dual_add_f32 v48, v10, v48
	v_add_f32_e32 v19, v50, v40
	v_dual_add_f32 v18, v34, v18 :: v_dual_add_f32 v41, v41, v43
	s_delay_alu instid0(VALU_DEP_3) | instskip(SKIP_3) | instid1(VALU_DEP_2)
	v_add_f32_e32 v9, v9, v21
	v_add_f32_e32 v21, v65, v55
	v_dual_add_f32 v15, v16, v30 :: v_dual_add_f32 v16, v10, v32
	v_mul_f32_e32 v50, 0x3df6dbef, v36
	v_dual_add_f32 v10, v15, v20 :: v_dual_add_f32 v15, v49, v39
	v_dual_mul_f32 v49, 0xbf3f9e67, v36 :: v_dual_add_f32 v20, v64, v54
	v_mul_f32_e32 v39, 0x3f29c268, v38
	s_delay_alu instid0(VALU_DEP_2) | instskip(SKIP_2) | instid1(VALU_DEP_3)
	v_dual_add_f32 v10, v10, v22 :: v_dual_fmamk_f32 v43, v37, 0xbf29c268, v49
	v_fmac_f32_e32 v49, 0x3f29c268, v37
	v_mul_f32_e32 v32, 0xbf788fa5, v36
	v_dual_mul_f32 v36, 0x3f62ad3f, v36 :: v_dual_add_f32 v43, v43, v59
	s_delay_alu instid0(VALU_DEP_2) | instskip(SKIP_1) | instid1(VALU_DEP_1)
	v_fmamk_f32 v40, v37, 0x3e750f2a, v32
	v_fmac_f32_e32 v32, 0xbe750f2a, v37
	v_add_f32_e32 v32, v32, v44
	v_mul_f32_e32 v44, 0x3f7e222b, v38
	v_add_f32_e32 v34, v52, v42
	v_dual_add_f32 v52, v29, v23 :: v_dual_sub_f32 v23, v23, v29
	v_fmamk_f32 v42, v35, 0xbf3f9e67, v39
	s_delay_alu instid0(VALU_DEP_4) | instskip(SKIP_3) | instid1(VALU_DEP_3)
	v_fmamk_f32 v51, v35, 0x3df6dbef, v44
	v_fma_f32 v44, 0x3df6dbef, v35, -v44
	v_fma_f32 v39, 0xbf3f9e67, v35, -v39
	v_mul_f32_e32 v38, 0x3eedf032, v38
	v_add_f32_e32 v44, v44, v47
	v_sub_f32_e32 v47, v24, v30
	s_delay_alu instid0(VALU_DEP_4) | instskip(SKIP_2) | instid1(VALU_DEP_4)
	v_dual_add_f32 v42, v42, v58 :: v_dual_add_f32 v39, v39, v45
	v_dual_add_f32 v40, v40, v57 :: v_dual_fmamk_f32 v45, v37, 0xbf7e222b, v50
	v_fmamk_f32 v22, v35, 0xbf788fa5, v53
	v_dual_mul_f32 v53, 0xbf7e222b, v47 :: v_dual_add_f32 v24, v30, v24
	v_dual_add_f32 v46, v49, v46 :: v_dual_add_f32 v49, v51, v60
	s_delay_alu instid0(VALU_DEP_3) | instskip(SKIP_1) | instid1(VALU_DEP_4)
	v_dual_add_f32 v45, v45, v61 :: v_dual_add_f32 v22, v22, v56
	v_fmamk_f32 v51, v35, 0x3f62ad3f, v38
	v_fmamk_f32 v29, v52, 0x3df6dbef, v53
	v_fmac_f32_e32 v50, 0x3f7e222b, v37
	s_delay_alu instid0(VALU_DEP_1) | instskip(NEXT) | instid1(VALU_DEP_4)
	v_dual_add_f32 v17, v29, v17 :: v_dual_add_f32 v48, v50, v48
	v_dual_add_f32 v50, v51, v62 :: v_dual_fmamk_f32 v51, v37, 0xbeedf032, v36
	s_delay_alu instid0(VALU_DEP_1) | instskip(SKIP_3) | instid1(VALU_DEP_2)
	v_dual_fmac_f32 v36, 0x3eedf032, v37 :: v_dual_add_f32 v37, v51, v63
	v_fma_f32 v30, 0x3f62ad3f, v35, -v38
	v_mul_f32_e32 v35, 0x3df6dbef, v24
	v_mul_f32_e32 v38, 0xbf788fa5, v24
	v_fmamk_f32 v29, v23, 0x3f7e222b, v35
	s_delay_alu instid0(VALU_DEP_1) | instskip(NEXT) | instid1(VALU_DEP_1)
	v_dual_fmac_f32 v35, 0xbf7e222b, v23 :: v_dual_add_f32 v18, v29, v18
	v_add_f32_e32 v19, v35, v19
	s_delay_alu instid0(VALU_DEP_4) | instskip(NEXT) | instid1(VALU_DEP_1)
	v_dual_fmamk_f32 v35, v23, 0x3e750f2a, v38 :: v_dual_add_f32 v16, v36, v16
	v_add_f32_e32 v21, v35, v21
	v_fma_f32 v36, 0x3df6dbef, v52, -v53
	s_delay_alu instid0(VALU_DEP_1) | instskip(SKIP_4) | instid1(VALU_DEP_1)
	v_add_f32_e32 v15, v36, v15
	v_fmac_f32_e32 v38, 0xbe750f2a, v23
	v_mul_f32_e32 v36, 0x3f6f5d39, v47
	v_add_f32_e32 v30, v30, v31
	v_mul_f32_e32 v31, 0xbe750f2a, v47
	v_fmamk_f32 v29, v52, 0xbf788fa5, v31
	v_mul_f32_e32 v35, 0xbeb58ec6, v24
	v_mul_f32_e32 v51, 0x3f62ad3f, v24
	s_delay_alu instid0(VALU_DEP_3) | instskip(SKIP_1) | instid1(VALU_DEP_1)
	v_add_f32_e32 v20, v29, v20
	v_fma_f32 v29, 0xbf788fa5, v52, -v31
	v_add_f32_e32 v29, v29, v33
	v_add_f32_e32 v33, v38, v34
	v_fmamk_f32 v31, v52, 0xbeb58ec6, v36
	v_mul_f32_e32 v34, 0x3eedf032, v47
	v_fma_f32 v36, 0xbeb58ec6, v52, -v36
	s_delay_alu instid0(VALU_DEP_3)
	v_add_f32_e32 v22, v31, v22
	v_fmamk_f32 v31, v23, 0xbf6f5d39, v35
	v_fmac_f32_e32 v35, 0x3f6f5d39, v23
	v_fmamk_f32 v38, v52, 0x3f62ad3f, v34
	v_dual_add_f32 v36, v36, v41 :: v_dual_mul_f32 v41, 0x3f116cb1, v24
	v_mul_f32_e32 v24, 0xbf3f9e67, v24
	s_delay_alu instid0(VALU_DEP_3) | instskip(SKIP_1) | instid1(VALU_DEP_1)
	v_dual_add_f32 v32, v35, v32 :: v_dual_add_f32 v35, v38, v42
	v_fma_f32 v34, 0x3f62ad3f, v52, -v34
	v_dual_add_f32 v31, v31, v40 :: v_dual_add_f32 v34, v34, v39
	v_fmamk_f32 v39, v23, 0x3f52af12, v41
	v_fmac_f32_e32 v41, 0xbf52af12, v23
	v_fmamk_f32 v38, v23, 0xbeedf032, v51
	v_fmac_f32_e32 v51, 0x3eedf032, v23
	s_delay_alu instid0(VALU_DEP_4) | instskip(NEXT) | instid1(VALU_DEP_3)
	v_dual_mul_f32 v40, 0xbf52af12, v47 :: v_dual_add_f32 v39, v39, v45
	v_dual_add_f32 v41, v41, v48 :: v_dual_add_f32 v38, v38, v43
	s_delay_alu instid0(VALU_DEP_3) | instskip(SKIP_3) | instid1(VALU_DEP_3)
	v_dual_add_f32 v43, v51, v46 :: v_dual_mul_f32 v46, 0xbf29c268, v47
	v_fmamk_f32 v47, v23, 0x3f29c268, v24
	v_fmac_f32_e32 v24, 0xbf29c268, v23
	v_sub_f32_e32 v23, v25, v27
	v_add_f32_e32 v37, v47, v37
	v_fmamk_f32 v45, v52, 0xbf3f9e67, v46
	v_fmamk_f32 v42, v52, 0x3f116cb1, v40
	v_fma_f32 v40, 0x3f116cb1, v52, -v40
	s_delay_alu instid0(VALU_DEP_1) | instskip(NEXT) | instid1(VALU_DEP_4)
	v_add_f32_e32 v40, v40, v44
	v_dual_sub_f32 v44, v26, v28 :: v_dual_add_f32 v45, v45, v50
	s_delay_alu instid0(VALU_DEP_4) | instskip(SKIP_1) | instid1(VALU_DEP_3)
	v_add_f32_e32 v42, v42, v49
	v_add_f32_e32 v26, v28, v26
	v_dual_add_f32 v48, v27, v25 :: v_dual_mul_f32 v49, 0xbf6f5d39, v44
	v_fma_f32 v28, 0xbf3f9e67, v52, -v46
	s_delay_alu instid0(VALU_DEP_3) | instskip(SKIP_1) | instid1(VALU_DEP_4)
	v_mul_f32_e32 v27, 0xbeb58ec6, v26
	v_mul_f32_e32 v47, 0x3df6dbef, v26
	v_fmamk_f32 v25, v48, 0xbeb58ec6, v49
	s_delay_alu instid0(VALU_DEP_4) | instskip(SKIP_1) | instid1(VALU_DEP_3)
	v_add_f32_e32 v28, v28, v30
	v_fma_f32 v30, 0xbeb58ec6, v48, -v49
	v_add_f32_e32 v17, v25, v17
	v_mul_f32_e32 v25, 0x3f29c268, v44
	v_add_f32_e32 v16, v24, v16
	s_delay_alu instid0(VALU_DEP_4) | instskip(SKIP_2) | instid1(VALU_DEP_2)
	v_dual_fmamk_f32 v24, v23, 0x3f6f5d39, v27 :: v_dual_add_f32 v15, v30, v15
	v_fmac_f32_e32 v27, 0xbf6f5d39, v23
	v_mul_f32_e32 v46, 0xbf3f9e67, v26
	v_dual_add_f32 v18, v24, v18 :: v_dual_add_f32 v19, v27, v19
	s_delay_alu instid0(VALU_DEP_2) | instskip(SKIP_2) | instid1(VALU_DEP_3)
	v_fmamk_f32 v27, v23, 0xbf29c268, v46
	v_fmamk_f32 v24, v48, 0xbf3f9e67, v25
	v_fmac_f32_e32 v46, 0x3f29c268, v23
	v_dual_mul_f32 v30, 0x3eedf032, v44 :: v_dual_add_f32 v21, v27, v21
	s_delay_alu instid0(VALU_DEP_3) | instskip(SKIP_1) | instid1(VALU_DEP_1)
	v_dual_add_f32 v20, v24, v20 :: v_dual_mul_f32 v27, 0x3f62ad3f, v26
	v_fma_f32 v24, 0xbf3f9e67, v48, -v25
	v_add_f32_e32 v24, v24, v29
	v_add_f32_e32 v29, v46, v33
	v_mul_f32_e32 v33, 0xbf7e222b, v44
	v_fmamk_f32 v25, v48, 0x3f62ad3f, v30
	v_fma_f32 v30, 0x3f62ad3f, v48, -v30
	s_delay_alu instid0(VALU_DEP_3) | instskip(NEXT) | instid1(VALU_DEP_3)
	v_fmamk_f32 v46, v48, 0x3df6dbef, v33
	v_dual_add_f32 v22, v25, v22 :: v_dual_fmamk_f32 v25, v23, 0xbeedf032, v27
	s_delay_alu instid0(VALU_DEP_3) | instskip(SKIP_1) | instid1(VALU_DEP_3)
	v_dual_fmac_f32 v27, 0x3eedf032, v23 :: v_dual_add_f32 v30, v30, v36
	v_fma_f32 v33, 0x3df6dbef, v48, -v33
	v_dual_mul_f32 v36, 0xbf788fa5, v26 :: v_dual_add_f32 v25, v25, v31
	v_add_f32_e32 v31, v46, v35
	s_delay_alu instid0(VALU_DEP_4) | instskip(NEXT) | instid1(VALU_DEP_4)
	v_add_f32_e32 v27, v27, v32
	v_dual_fmamk_f32 v32, v23, 0x3f7e222b, v47 :: v_dual_add_f32 v33, v33, v34
	s_delay_alu instid0(VALU_DEP_4) | instskip(SKIP_1) | instid1(VALU_DEP_3)
	v_fmamk_f32 v34, v23, 0xbe750f2a, v36
	v_mul_f32_e32 v35, 0x3e750f2a, v44
	v_dual_fmac_f32 v47, 0xbf7e222b, v23 :: v_dual_add_f32 v32, v32, v38
	v_mul_f32_e32 v44, 0x3f52af12, v44
	s_delay_alu instid0(VALU_DEP_4) | instskip(NEXT) | instid1(VALU_DEP_4)
	v_add_f32_e32 v34, v34, v39
	v_fmamk_f32 v38, v48, 0xbf788fa5, v35
	v_fma_f32 v35, 0xbf788fa5, v48, -v35
	v_fmac_f32_e32 v36, 0x3e750f2a, v23
	v_dual_fmamk_f32 v39, v48, 0x3f116cb1, v44 :: v_dual_mul_f32 v26, 0x3f116cb1, v26
	s_delay_alu instid0(VALU_DEP_3) | instskip(SKIP_2) | instid1(VALU_DEP_4)
	v_add_f32_e32 v35, v35, v40
	v_dual_sub_f32 v40, v2, v8 :: v_dual_add_f32 v43, v47, v43
	v_add_f32_e32 v38, v38, v42
	v_dual_add_f32 v36, v36, v41 :: v_dual_fmamk_f32 v41, v23, 0xbf52af12, v26
	v_add_f32_e32 v39, v39, v45
	s_delay_alu instid0(VALU_DEP_4) | instskip(SKIP_3) | instid1(VALU_DEP_4)
	v_dual_add_f32 v42, v7, v1 :: v_dual_mul_f32 v45, 0xbf29c268, v40
	v_dual_add_f32 v2, v8, v2 :: v_dual_sub_f32 v1, v1, v7
	v_fma_f32 v8, 0x3f116cb1, v48, -v44
	v_dual_fmac_f32 v26, 0x3f52af12, v23 :: v_dual_add_f32 v37, v41, v37
	v_fmamk_f32 v7, v42, 0xbf3f9e67, v45
	s_delay_alu instid0(VALU_DEP_3) | instskip(NEXT) | instid1(VALU_DEP_3)
	v_dual_mul_f32 v23, 0xbf3f9e67, v2 :: v_dual_add_f32 v8, v8, v28
	v_add_f32_e32 v16, v26, v16
	s_delay_alu instid0(VALU_DEP_3) | instskip(NEXT) | instid1(VALU_DEP_3)
	v_dual_mul_f32 v26, 0x3f7e222b, v40 :: v_dual_add_f32 v7, v7, v17
	v_fmamk_f32 v17, v1, 0x3f29c268, v23
	v_mul_f32_e32 v41, 0x3df6dbef, v2
	v_fma_f32 v28, 0xbf3f9e67, v42, -v45
	v_mul_f32_e32 v44, 0xbf788fa5, v2
	s_delay_alu instid0(VALU_DEP_4) | instskip(NEXT) | instid1(VALU_DEP_3)
	v_dual_add_f32 v17, v17, v18 :: v_dual_fmamk_f32 v18, v42, 0x3df6dbef, v26
	v_dual_add_f32 v15, v28, v15 :: v_dual_mul_f32 v28, 0xbf52af12, v40
	s_delay_alu instid0(VALU_DEP_2) | instskip(SKIP_2) | instid1(VALU_DEP_2)
	v_add_f32_e32 v18, v18, v20
	v_fma_f32 v20, 0x3df6dbef, v42, -v26
	v_mul_f32_e32 v26, 0x3f116cb1, v2
	v_dual_fmac_f32 v23, 0xbf29c268, v1 :: v_dual_add_f32 v20, v20, v24
	s_delay_alu instid0(VALU_DEP_1) | instskip(SKIP_1) | instid1(VALU_DEP_1)
	v_add_f32_e32 v19, v23, v19
	v_fmamk_f32 v23, v1, 0xbf7e222b, v41
	v_add_f32_e32 v21, v23, v21
	v_fmamk_f32 v23, v42, 0x3f116cb1, v28
	v_fmac_f32_e32 v41, 0x3f7e222b, v1
	v_fma_f32 v28, 0x3f116cb1, v42, -v28
	s_delay_alu instid0(VALU_DEP_3) | instskip(NEXT) | instid1(VALU_DEP_3)
	v_add_f32_e32 v22, v23, v22
	v_dual_add_f32 v24, v41, v29 :: v_dual_mul_f32 v29, 0x3e750f2a, v40
	v_fmamk_f32 v23, v1, 0x3f52af12, v26
	v_fmac_f32_e32 v26, 0xbf52af12, v1
	s_delay_alu instid0(VALU_DEP_2)
	v_add_f32_e32 v23, v23, v25
	v_dual_add_f32 v25, v28, v30 :: v_dual_fmamk_f32 v28, v1, 0xbe750f2a, v44
	v_fmac_f32_e32 v44, 0x3e750f2a, v1
	v_fmamk_f32 v41, v42, 0xbf788fa5, v29
	v_fma_f32 v29, 0xbf788fa5, v42, -v29
	v_mul_f32_e32 v30, 0x3eedf032, v40
	v_add_f32_e32 v28, v28, v32
	v_add_f32_e32 v26, v26, v27
	s_delay_alu instid0(VALU_DEP_4) | instskip(NEXT) | instid1(VALU_DEP_4)
	v_dual_mul_f32 v40, 0xbf6f5d39, v40 :: v_dual_add_f32 v29, v29, v33
	v_fmamk_f32 v32, v42, 0x3f62ad3f, v30
	v_fma_f32 v30, 0x3f62ad3f, v42, -v30
	s_delay_alu instid0(VALU_DEP_2) | instskip(SKIP_2) | instid1(VALU_DEP_4)
	v_add_f32_e32 v32, v32, v38
	v_add_f32_e32 v38, v5, v3
	;; [unrolled: 1-line block ×3, first 2 shown]
	v_dual_mul_f32 v31, 0x3f62ad3f, v2 :: v_dual_add_f32 v30, v30, v35
	v_add_f32_e32 v41, v44, v43
	s_delay_alu instid0(VALU_DEP_2) | instskip(SKIP_3) | instid1(VALU_DEP_4)
	v_fmamk_f32 v33, v1, 0xbeedf032, v31
	v_fmac_f32_e32 v31, 0x3eedf032, v1
	v_mul_f32_e32 v2, 0xbeb58ec6, v2
	v_sub_f32_e32 v35, v4, v6
	v_dual_add_f32 v33, v33, v34 :: v_dual_fmamk_f32 v34, v42, 0xbeb58ec6, v40
	s_delay_alu instid0(VALU_DEP_3) | instskip(SKIP_1) | instid1(VALU_DEP_3)
	v_dual_add_f32 v31, v31, v36 :: v_dual_fmamk_f32 v36, v1, 0x3f6f5d39, v2
	v_dual_add_f32 v43, v6, v4 :: v_dual_fmac_f32 v2, 0xbf6f5d39, v1
	v_add_f32_e32 v34, v34, v39
	v_mul_f32_e32 v39, 0xbe750f2a, v35
	v_fma_f32 v4, 0xbeb58ec6, v42, -v40
	s_delay_alu instid0(VALU_DEP_4) | instskip(NEXT) | instid1(VALU_DEP_3)
	v_dual_sub_f32 v40, v3, v5 :: v_dual_mul_f32 v5, 0xbf788fa5, v43
	v_dual_add_f32 v36, v36, v37 :: v_dual_fmamk_f32 v1, v38, 0xbf788fa5, v39
	s_delay_alu instid0(VALU_DEP_3) | instskip(SKIP_1) | instid1(VALU_DEP_3)
	v_dual_add_f32 v37, v4, v8 :: v_dual_mul_f32 v6, 0x3eedf032, v35
	v_add_f32_e32 v42, v2, v16
	v_dual_fmamk_f32 v2, v40, 0x3e750f2a, v5 :: v_dual_add_f32 v1, v1, v7
	v_fma_f32 v3, 0xbf788fa5, v38, -v39
	s_delay_alu instid0(VALU_DEP_4) | instskip(NEXT) | instid1(VALU_DEP_2)
	v_dual_mul_f32 v8, 0x3f62ad3f, v43 :: v_dual_fmamk_f32 v7, v38, 0x3f62ad3f, v6
	v_dual_add_f32 v2, v2, v17 :: v_dual_add_f32 v3, v3, v15
	s_delay_alu instid0(VALU_DEP_2) | instskip(SKIP_2) | instid1(VALU_DEP_2)
	v_fmamk_f32 v15, v40, 0xbeedf032, v8
	v_fmac_f32_e32 v5, 0xbe750f2a, v40
	v_fmac_f32_e32 v8, 0x3eedf032, v40
	v_dual_add_f32 v4, v5, v19 :: v_dual_add_f32 v5, v7, v18
	v_fma_f32 v7, 0x3f62ad3f, v38, -v6
	v_mul_f32_e32 v16, 0xbf29c268, v35
	v_add_f32_e32 v6, v15, v21
	s_delay_alu instid0(VALU_DEP_3) | instskip(NEXT) | instid1(VALU_DEP_3)
	v_dual_mul_f32 v18, 0xbf3f9e67, v43 :: v_dual_add_f32 v7, v7, v20
	v_fmamk_f32 v15, v38, 0xbf3f9e67, v16
	v_fma_f32 v19, 0xbf3f9e67, v38, -v16
	v_mul_f32_e32 v20, 0x3f52af12, v35
	s_delay_alu instid0(VALU_DEP_4) | instskip(SKIP_3) | instid1(VALU_DEP_3)
	v_fmamk_f32 v17, v40, 0x3f29c268, v18
	v_fmac_f32_e32 v18, 0xbf29c268, v40
	v_dual_add_f32 v8, v8, v24 :: v_dual_add_f32 v15, v15, v22
	v_mul_f32_e32 v22, 0x3f116cb1, v43
	v_add_f32_e32 v18, v18, v26
	v_dual_add_f32 v16, v17, v23 :: v_dual_add_f32 v17, v19, v25
	v_fmamk_f32 v21, v38, 0x3f116cb1, v20
	v_fma_f32 v24, 0x3f116cb1, v38, -v20
	ds_store_2addr_b64 v14, v[9:10], v[1:2] offset1:1
	ds_store_2addr_b64 v14, v[5:6], v[15:16] offset0:2 offset1:3
	v_mul_u32_u24_e32 v1, 12, v13
	v_add_f32_e32 v19, v21, v27
	v_fmamk_f32 v21, v40, 0xbf52af12, v22
	s_delay_alu instid0(VALU_DEP_3) | instskip(NEXT) | instid1(VALU_DEP_1)
	v_dual_fmac_f32 v22, 0x3f52af12, v40 :: v_dual_lshlrev_b32 v5, 3, v1
	v_dual_add_f32 v22, v22, v41 :: v_dual_mul_f32 v23, 0xbf6f5d39, v35
	s_delay_alu instid0(VALU_DEP_3) | instskip(SKIP_1) | instid1(VALU_DEP_3)
	v_add_f32_e32 v20, v21, v28
	v_dual_mul_f32 v26, 0xbeb58ec6, v43 :: v_dual_add_f32 v21, v24, v29
	v_fmamk_f32 v25, v38, 0xbeb58ec6, v23
	v_fma_f32 v27, 0xbeb58ec6, v38, -v23
	s_delay_alu instid0(VALU_DEP_3) | instskip(NEXT) | instid1(VALU_DEP_3)
	v_fmamk_f32 v24, v40, 0x3f6f5d39, v26
	v_dual_mul_f32 v28, 0x3f7e222b, v35 :: v_dual_add_f32 v23, v25, v32
	s_delay_alu instid0(VALU_DEP_3) | instskip(NEXT) | instid1(VALU_DEP_2)
	v_dual_add_f32 v25, v27, v30 :: v_dual_mul_f32 v32, 0x3df6dbef, v43
	v_fmamk_f32 v27, v38, 0x3df6dbef, v28
	v_fma_f32 v30, 0x3df6dbef, v38, -v28
	v_fmac_f32_e32 v26, 0xbf6f5d39, v40
	v_add_f32_e32 v24, v24, v33
	v_fmamk_f32 v29, v40, 0xbf7e222b, v32
	v_dual_fmac_f32 v32, 0x3f7e222b, v40 :: v_dual_add_f32 v27, v27, v34
	s_delay_alu instid0(VALU_DEP_2) | instskip(NEXT) | instid1(VALU_DEP_2)
	v_dual_add_f32 v28, v29, v36 :: v_dual_add_f32 v29, v30, v37
	v_add_f32_e32 v30, v32, v42
	v_add_f32_e32 v26, v26, v31
	ds_store_2addr_b64 v14, v[19:20], v[23:24] offset0:4 offset1:5
	ds_store_2addr_b64 v14, v[27:28], v[29:30] offset0:6 offset1:7
	;; [unrolled: 1-line block ×4, first 2 shown]
	ds_store_b64 v14, v[3:4] offset:96
	global_wb scope:SCOPE_SE
	s_wait_dscnt 0x0
	s_barrier_signal -1
	s_barrier_wait -1
	global_inv scope:SCOPE_SE
	s_clause 0x5
	global_load_b128 v[1:4], v5, s[4:5]
	global_load_b128 v[6:9], v5, s[4:5] offset:16
	global_load_b128 v[13:16], v5, s[4:5] offset:32
	;; [unrolled: 1-line block ×5, first 2 shown]
	ds_load_2addr_b64 v[29:32], v11 offset0:13 offset1:26
	ds_load_b64 v[49:50], v11 offset:312
	ds_load_b64 v[51:52], v12
	ds_load_2addr_b32 v[53:54], v11 offset0:104 offset1:105
	ds_load_2addr_b64 v[33:36], v11 offset0:65 offset1:78
	ds_load_2addr_b64 v[37:40], v11 offset0:91 offset1:104
	;; [unrolled: 1-line block ×4, first 2 shown]
	s_mov_b32 s5, 0
	global_wb scope:SCOPE_SE
	s_wait_loadcnt_dscnt 0x0
	s_barrier_signal -1
	s_barrier_wait -1
	global_inv scope:SCOPE_SE
	s_mov_b32 s7, s5
	s_mul_i32 s4, s13, s10
	s_wait_alu 0xfffe
	s_mul_u64 s[10:11], s[8:9], s[6:7]
	s_delay_alu instid0(SALU_CYCLE_1) | instskip(NEXT) | instid1(SALU_CYCLE_1)
	s_add_nc_u64 s[10:11], s[10:11], s[4:5]
	s_add_nc_u64 s[10:11], s[10:11], s[14:15]
	v_mul_f32_e32 v10, v2, v30
	v_mul_f32_e32 v2, v2, v29
	;; [unrolled: 1-line block ×4, first 2 shown]
	s_delay_alu instid0(VALU_DEP_4) | instskip(NEXT) | instid1(VALU_DEP_4)
	v_dual_fmac_f32 v10, v1, v29 :: v_dual_mul_f32 v29, v7, v50
	v_fma_f32 v1, v1, v30, -v2
	s_delay_alu instid0(VALU_DEP_4) | instskip(SKIP_4) | instid1(VALU_DEP_4)
	v_fmac_f32_e32 v12, v3, v31
	v_dual_mul_f32 v2, v7, v49 :: v_dual_mul_f32 v7, v34, v14
	v_fma_f32 v30, v3, v32, -v4
	v_mul_f32_e32 v3, v9, v53
	v_mul_f32_e32 v31, v54, v9
	v_fma_f32 v9, v6, v50, -v2
	v_dual_mul_f32 v2, v33, v14 :: v_dual_fmac_f32 v29, v6, v49
	s_delay_alu instid0(VALU_DEP_4)
	v_fma_f32 v14, v54, v8, -v3
	v_mul_f32_e32 v3, v36, v16
	v_fmac_f32_e32 v31, v8, v53
	v_fmac_f32_e32 v7, v33, v13
	v_fma_f32 v8, v34, v13, -v2
	v_mul_f32_e32 v2, v35, v16
	v_add_f32_e32 v13, v1, v52
	v_fmac_f32_e32 v3, v35, v15
	v_add_f32_e32 v6, v10, v51
	v_mul_f32_e32 v4, v38, v18
	v_fma_f32 v5, v36, v15, -v2
	v_mul_f32_e32 v15, v40, v20
	s_delay_alu instid0(VALU_DEP_4) | instskip(SKIP_2) | instid1(VALU_DEP_2)
	v_add_f32_e32 v2, v6, v12
	v_add_f32_e32 v6, v13, v30
	v_mul_f32_e32 v13, v37, v18
	v_dual_fmac_f32 v15, v39, v19 :: v_dual_add_f32 v16, v6, v9
	s_delay_alu instid0(VALU_DEP_2) | instskip(SKIP_3) | instid1(VALU_DEP_3)
	v_fma_f32 v6, v38, v17, -v13
	v_mul_f32_e32 v13, v39, v20
	v_mul_f32_e32 v20, v43, v24
	v_dual_fmac_f32 v4, v37, v17 :: v_dual_mul_f32 v17, v42, v22
	v_fma_f32 v13, v40, v19, -v13
	v_dual_mul_f32 v19, v44, v24 :: v_dual_add_f32 v2, v2, v29
	s_delay_alu instid0(VALU_DEP_4) | instskip(NEXT) | instid1(VALU_DEP_4)
	v_fma_f32 v20, v44, v23, -v20
	v_fmac_f32_e32 v17, v41, v21
	s_delay_alu instid0(VALU_DEP_3) | instskip(SKIP_2) | instid1(VALU_DEP_3)
	v_dual_mul_f32 v24, v45, v26 :: v_dual_fmac_f32 v19, v43, v23
	v_dual_mul_f32 v23, v48, v28 :: v_dual_mul_f32 v18, v41, v22
	v_add_f32_e32 v2, v2, v31
	v_fma_f32 v24, v46, v25, -v24
	s_delay_alu instid0(VALU_DEP_3) | instskip(NEXT) | instid1(VALU_DEP_4)
	v_fmac_f32_e32 v23, v47, v27
	v_fma_f32 v18, v42, v21, -v18
	v_mul_f32_e32 v21, v46, v26
	s_delay_alu instid0(VALU_DEP_4) | instskip(NEXT) | instid1(VALU_DEP_2)
	v_dual_add_f32 v16, v16, v14 :: v_dual_sub_f32 v49, v30, v24
	v_dual_fmac_f32 v21, v45, v25 :: v_dual_mul_f32 v22, v47, v28
	s_delay_alu instid0(VALU_DEP_2) | instskip(NEXT) | instid1(VALU_DEP_2)
	v_dual_add_f32 v16, v16, v8 :: v_dual_add_f32 v25, v10, v23
	v_dual_sub_f32 v10, v10, v23 :: v_dual_add_f32 v53, v12, v21
	s_delay_alu instid0(VALU_DEP_3) | instskip(SKIP_1) | instid1(VALU_DEP_2)
	v_fma_f32 v22, v48, v27, -v22
	v_mul_f32_e32 v54, 0xbf52af12, v49
	v_add_f32_e32 v28, v1, v22
	s_delay_alu instid0(VALU_DEP_1) | instskip(NEXT) | instid1(VALU_DEP_1)
	v_mul_f32_e32 v42, 0xbeb58ec6, v28
	v_dual_sub_f32 v26, v1, v22 :: v_dual_fmamk_f32 v43, v10, 0x3f6f5d39, v42
	s_delay_alu instid0(VALU_DEP_1) | instskip(SKIP_2) | instid1(VALU_DEP_3)
	v_dual_add_f32 v2, v2, v7 :: v_dual_mul_f32 v27, 0xbeedf032, v26
	v_mul_f32_e32 v36, 0xbf7e222b, v26
	v_mul_f32_e32 v39, 0xbf6f5d39, v26
	v_dual_add_f32 v43, v43, v52 :: v_dual_add_f32 v2, v2, v3
	v_mul_f32_e32 v33, 0x3f116cb1, v28
	s_delay_alu instid0(VALU_DEP_4) | instskip(NEXT) | instid1(VALU_DEP_4)
	v_fmamk_f32 v37, v25, 0x3df6dbef, v36
	v_fmamk_f32 v41, v25, 0xbeb58ec6, v39
	v_fma_f32 v39, 0xbeb58ec6, v25, -v39
	v_add_f32_e32 v2, v2, v4
	v_fmamk_f32 v35, v10, 0x3f52af12, v33
	v_add_f32_e32 v37, v37, v51
	v_mul_f32_e32 v45, 0xbf3f9e67, v28
	v_dual_mul_f32 v32, 0x3f62ad3f, v28 :: v_dual_add_f32 v41, v41, v51
	v_dual_add_f32 v2, v2, v15 :: v_dual_fmac_f32 v33, 0xbf52af12, v10
	v_dual_mul_f32 v44, 0xbf29c268, v26 :: v_dual_add_f32 v39, v39, v51
	s_delay_alu instid0(VALU_DEP_4) | instskip(NEXT) | instid1(VALU_DEP_3)
	v_fmamk_f32 v47, v10, 0x3f29c268, v45
	v_dual_add_f32 v2, v2, v17 :: v_dual_fmac_f32 v45, 0xbf29c268, v10
	v_dual_fmac_f32 v42, 0xbf6f5d39, v10 :: v_dual_add_f32 v35, v35, v52
	s_delay_alu instid0(VALU_DEP_2)
	v_dual_add_f32 v47, v47, v52 :: v_dual_add_f32 v2, v2, v19
	v_add_f32_e32 v33, v33, v52
	v_fmamk_f32 v46, v25, 0xbf3f9e67, v44
	v_fma_f32 v44, 0xbf3f9e67, v25, -v44
	v_add_f32_e32 v45, v45, v52
	v_add_f32_e32 v1, v2, v21
	;; [unrolled: 1-line block ×3, first 2 shown]
	v_fma_f32 v36, 0x3df6dbef, v25, -v36
	v_add_f32_e32 v44, v44, v51
	s_delay_alu instid0(VALU_DEP_3) | instskip(SKIP_2) | instid1(VALU_DEP_3)
	v_dual_add_f32 v1, v1, v23 :: v_dual_add_f32 v16, v16, v6
	v_mul_f32_e32 v23, 0xbf52af12, v26
	v_mul_f32_e32 v26, 0xbe750f2a, v26
	v_add_f32_e32 v16, v16, v13
	s_delay_alu instid0(VALU_DEP_3) | instskip(SKIP_1) | instid1(VALU_DEP_1)
	v_fmamk_f32 v34, v25, 0x3f116cb1, v23
	v_fma_f32 v23, 0x3f116cb1, v25, -v23
	v_dual_add_f32 v16, v16, v18 :: v_dual_add_f32 v23, v23, v51
	s_delay_alu instid0(VALU_DEP_1) | instskip(NEXT) | instid1(VALU_DEP_1)
	v_add_f32_e32 v16, v16, v20
	v_add_f32_e32 v2, v16, v24
	v_fmamk_f32 v16, v25, 0x3f62ad3f, v27
	v_fma_f32 v27, 0x3f62ad3f, v25, -v27
	v_add_f32_e32 v24, v30, v24
	v_add_f32_e32 v46, v46, v51
	;; [unrolled: 1-line block ×4, first 2 shown]
	v_fmamk_f32 v22, v10, 0x3eedf032, v32
	v_dual_fmac_f32 v32, 0xbeedf032, v10 :: v_dual_add_f32 v27, v27, v51
	v_mul_f32_e32 v38, 0x3df6dbef, v28
	v_mul_f32_e32 v28, 0xbf788fa5, v28
	s_delay_alu instid0(VALU_DEP_4)
	v_add_f32_e32 v22, v22, v52
	v_fmamk_f32 v48, v25, 0xbf788fa5, v26
	v_fma_f32 v25, 0xbf788fa5, v25, -v26
	v_add_f32_e32 v32, v32, v52
	v_fmamk_f32 v50, v10, 0x3e750f2a, v28
	v_add_f32_e32 v34, v34, v51
	s_delay_alu instid0(VALU_DEP_4) | instskip(SKIP_1) | instid1(VALU_DEP_4)
	v_dual_fmac_f32 v28, 0xbe750f2a, v10 :: v_dual_add_f32 v25, v25, v51
	v_add_f32_e32 v48, v48, v51
	v_add_f32_e32 v26, v50, v52
	v_fma_f32 v50, 0x3f116cb1, v53, -v54
	s_delay_alu instid0(VALU_DEP_1)
	v_add_f32_e32 v27, v50, v27
	v_fmamk_f32 v40, v10, 0x3f7e222b, v38
	v_fmac_f32_e32 v38, 0xbf7e222b, v10
	v_sub_f32_e32 v10, v12, v21
	v_dual_fmamk_f32 v12, v53, 0x3f116cb1, v54 :: v_dual_mul_f32 v21, 0x3f116cb1, v24
	v_dual_add_f32 v36, v36, v51 :: v_dual_mul_f32 v51, 0xbeb58ec6, v24
	v_mul_f32_e32 v50, 0xbe750f2a, v49
	s_delay_alu instid0(VALU_DEP_3) | instskip(NEXT) | instid1(VALU_DEP_4)
	v_add_f32_e32 v12, v12, v16
	v_fmamk_f32 v16, v10, 0x3f52af12, v21
	v_fmac_f32_e32 v21, 0xbf52af12, v10
	s_delay_alu instid0(VALU_DEP_1) | instskip(SKIP_2) | instid1(VALU_DEP_2)
	v_dual_add_f32 v16, v16, v22 :: v_dual_add_f32 v21, v21, v32
	v_fmamk_f32 v32, v10, 0x3f6f5d39, v51
	v_dual_add_f32 v40, v40, v52 :: v_dual_fmac_f32 v51, 0xbf6f5d39, v10
	v_add_f32_e32 v32, v32, v35
	v_mul_f32_e32 v30, 0xbf6f5d39, v49
	v_mul_f32_e32 v35, 0xbf788fa5, v24
	s_delay_alu instid0(VALU_DEP_2) | instskip(SKIP_1) | instid1(VALU_DEP_2)
	v_fmamk_f32 v22, v53, 0xbeb58ec6, v30
	v_fma_f32 v30, 0xbeb58ec6, v53, -v30
	v_add_f32_e32 v22, v22, v34
	s_delay_alu instid0(VALU_DEP_2)
	v_add_f32_e32 v23, v30, v23
	v_add_f32_e32 v38, v38, v52
	;; [unrolled: 1-line block ×3, first 2 shown]
	v_mul_f32_e32 v33, 0x3f29c268, v49
	v_fmamk_f32 v34, v53, 0xbf788fa5, v50
	v_fma_f32 v50, 0xbf788fa5, v53, -v50
	s_delay_alu instid0(VALU_DEP_3) | instskip(SKIP_1) | instid1(VALU_DEP_4)
	v_fmamk_f32 v51, v53, 0xbf3f9e67, v33
	v_fma_f32 v33, 0xbf3f9e67, v53, -v33
	v_add_f32_e32 v34, v34, v37
	v_fmamk_f32 v37, v10, 0x3e750f2a, v35
	v_dual_fmac_f32 v35, 0xbe750f2a, v10 :: v_dual_add_f32 v36, v50, v36
	s_delay_alu instid0(VALU_DEP_4) | instskip(NEXT) | instid1(VALU_DEP_3)
	v_dual_add_f32 v33, v33, v39 :: v_dual_add_f32 v42, v42, v52
	v_add_f32_e32 v37, v37, v40
	s_delay_alu instid0(VALU_DEP_3) | instskip(SKIP_4) | instid1(VALU_DEP_2)
	v_add_f32_e32 v35, v35, v38
	v_add_f32_e32 v38, v51, v41
	v_mul_f32_e32 v41, 0x3f7e222b, v49
	v_mul_f32_e32 v50, 0x3df6dbef, v24
	;; [unrolled: 1-line block ×3, first 2 shown]
	v_fmamk_f32 v39, v10, 0xbf7e222b, v50
	s_delay_alu instid0(VALU_DEP_1) | instskip(NEXT) | instid1(VALU_DEP_1)
	v_dual_fmac_f32 v50, 0x3f7e222b, v10 :: v_dual_add_f32 v39, v39, v47
	v_dual_add_f32 v45, v50, v45 :: v_dual_add_f32 v28, v28, v52
	v_mul_f32_e32 v52, 0xbf3f9e67, v24
	s_delay_alu instid0(VALU_DEP_1) | instskip(NEXT) | instid1(VALU_DEP_1)
	v_fmamk_f32 v40, v10, 0xbf29c268, v52
	v_dual_add_f32 v40, v40, v43 :: v_dual_fmamk_f32 v43, v53, 0x3df6dbef, v41
	v_fma_f32 v41, 0x3df6dbef, v53, -v41
	s_delay_alu instid0(VALU_DEP_2) | instskip(NEXT) | instid1(VALU_DEP_2)
	v_dual_add_f32 v43, v43, v46 :: v_dual_fmamk_f32 v46, v53, 0x3f62ad3f, v49
	v_dual_add_f32 v41, v41, v44 :: v_dual_fmac_f32 v52, 0x3f29c268, v10
	s_delay_alu instid0(VALU_DEP_2) | instskip(SKIP_1) | instid1(VALU_DEP_1)
	v_add_f32_e32 v46, v46, v48
	v_mul_f32_e32 v24, 0x3f62ad3f, v24
	v_fmamk_f32 v47, v10, 0xbeedf032, v24
	v_fmac_f32_e32 v24, 0x3eedf032, v10
	v_sub_f32_e32 v10, v29, v19
	v_sub_f32_e32 v44, v9, v20
	v_add_f32_e32 v48, v29, v19
	v_add_f32_e32 v9, v9, v20
	v_fma_f32 v20, 0x3f62ad3f, v53, -v49
	v_add_f32_e32 v26, v47, v26
	v_mul_f32_e32 v50, 0xbf7e222b, v44
	s_delay_alu instid0(VALU_DEP_4) | instskip(NEXT) | instid1(VALU_DEP_4)
	v_dual_add_f32 v24, v24, v28 :: v_dual_mul_f32 v29, 0x3df6dbef, v9
	v_dual_add_f32 v20, v20, v25 :: v_dual_mul_f32 v25, 0xbe750f2a, v44
	s_delay_alu instid0(VALU_DEP_3) | instskip(SKIP_2) | instid1(VALU_DEP_3)
	v_fmamk_f32 v19, v48, 0x3df6dbef, v50
	v_fma_f32 v28, 0x3df6dbef, v48, -v50
	v_mul_f32_e32 v47, 0xbf788fa5, v9
	v_dual_mul_f32 v49, 0x3f62ad3f, v9 :: v_dual_add_f32 v12, v19, v12
	v_fmamk_f32 v19, v10, 0x3f7e222b, v29
	v_fmac_f32_e32 v29, 0xbf7e222b, v10
	s_delay_alu instid0(VALU_DEP_4) | instskip(NEXT) | instid1(VALU_DEP_3)
	v_dual_add_f32 v27, v28, v27 :: v_dual_fmamk_f32 v28, v10, 0x3e750f2a, v47
	v_dual_fmac_f32 v47, 0xbe750f2a, v10 :: v_dual_add_f32 v16, v19, v16
	v_fmamk_f32 v19, v48, 0xbf788fa5, v25
	s_delay_alu instid0(VALU_DEP_4) | instskip(SKIP_1) | instid1(VALU_DEP_3)
	v_add_f32_e32 v21, v29, v21
	v_mul_f32_e32 v29, 0x3f6f5d39, v44
	v_add_f32_e32 v19, v19, v22
	v_fma_f32 v22, 0xbf788fa5, v48, -v25
	v_add_f32_e32 v25, v28, v32
	s_delay_alu instid0(VALU_DEP_4) | instskip(SKIP_1) | instid1(VALU_DEP_4)
	v_fmamk_f32 v28, v48, 0xbeb58ec6, v29
	v_fma_f32 v29, 0xbeb58ec6, v48, -v29
	v_add_f32_e32 v22, v22, v23
	v_mul_f32_e32 v32, 0xbeb58ec6, v9
	s_delay_alu instid0(VALU_DEP_3) | instskip(NEXT) | instid1(VALU_DEP_2)
	v_dual_add_f32 v28, v28, v34 :: v_dual_add_f32 v29, v29, v36
	v_dual_add_f32 v23, v47, v30 :: v_dual_fmamk_f32 v34, v10, 0xbf6f5d39, v32
	v_fmac_f32_e32 v32, 0x3f6f5d39, v10
	s_delay_alu instid0(VALU_DEP_2) | instskip(NEXT) | instid1(VALU_DEP_2)
	v_add_f32_e32 v34, v34, v37
	v_add_f32_e32 v32, v32, v35
	v_fmamk_f32 v36, v10, 0xbeedf032, v49
	v_dual_fmac_f32 v49, 0x3eedf032, v10 :: v_dual_mul_f32 v30, 0x3eedf032, v44
	v_mul_f32_e32 v37, 0xbf52af12, v44
	v_mul_f32_e32 v44, 0xbf29c268, v44
	s_delay_alu instid0(VALU_DEP_4) | instskip(NEXT) | instid1(VALU_DEP_4)
	v_add_f32_e32 v36, v36, v40
	v_fmamk_f32 v47, v48, 0x3f62ad3f, v30
	v_fma_f32 v30, 0x3f62ad3f, v48, -v30
	s_delay_alu instid0(VALU_DEP_2) | instskip(NEXT) | instid1(VALU_DEP_2)
	v_dual_add_f32 v35, v47, v38 :: v_dual_mul_f32 v38, 0x3f116cb1, v9
	v_add_f32_e32 v30, v30, v33
	v_fmamk_f32 v40, v48, 0x3f116cb1, v37
	v_fma_f32 v37, 0x3f116cb1, v48, -v37
	v_mul_f32_e32 v9, 0xbf3f9e67, v9
	v_fmamk_f32 v33, v10, 0x3f52af12, v38
	s_delay_alu instid0(VALU_DEP_3) | instskip(NEXT) | instid1(VALU_DEP_2)
	v_dual_add_f32 v37, v37, v41 :: v_dual_add_f32 v42, v52, v42
	v_add_f32_e32 v33, v33, v39
	v_fmamk_f32 v39, v48, 0xbf3f9e67, v44
	v_sub_f32_e32 v41, v14, v18
	v_add_f32_e32 v14, v14, v18
	v_dual_add_f32 v40, v40, v43 :: v_dual_fmamk_f32 v43, v10, 0x3f29c268, v9
	s_delay_alu instid0(VALU_DEP_4) | instskip(SKIP_4) | instid1(VALU_DEP_4)
	v_add_f32_e32 v39, v39, v46
	v_fmac_f32_e32 v38, 0xbf52af12, v10
	v_fma_f32 v18, 0xbf3f9e67, v48, -v44
	v_dual_fmac_f32 v9, 0xbf29c268, v10 :: v_dual_sub_f32 v10, v31, v17
	v_add_f32_e32 v42, v49, v42
	v_add_f32_e32 v38, v38, v45
	;; [unrolled: 1-line block ×3, first 2 shown]
	v_mul_f32_e32 v46, 0xbf6f5d39, v41
	v_dual_mul_f32 v31, 0xbeb58ec6, v14 :: v_dual_add_f32 v18, v18, v20
	v_mul_f32_e32 v20, 0x3f29c268, v41
	s_delay_alu instid0(VALU_DEP_3) | instskip(SKIP_2) | instid1(VALU_DEP_3)
	v_dual_add_f32 v26, v43, v26 :: v_dual_fmamk_f32 v17, v45, 0xbeb58ec6, v46
	v_add_f32_e32 v9, v9, v24
	v_fma_f32 v24, 0xbeb58ec6, v45, -v46
	v_dual_mul_f32 v43, 0xbf3f9e67, v14 :: v_dual_add_f32 v12, v17, v12
	v_fmamk_f32 v17, v10, 0x3f6f5d39, v31
	s_delay_alu instid0(VALU_DEP_3) | instskip(NEXT) | instid1(VALU_DEP_3)
	v_dual_fmac_f32 v31, 0xbf6f5d39, v10 :: v_dual_add_f32 v24, v24, v27
	v_fmamk_f32 v27, v10, 0xbf29c268, v43
	s_delay_alu instid0(VALU_DEP_3) | instskip(SKIP_1) | instid1(VALU_DEP_4)
	v_dual_fmac_f32 v43, 0x3f29c268, v10 :: v_dual_add_f32 v16, v17, v16
	v_fmamk_f32 v17, v45, 0xbf3f9e67, v20
	v_add_f32_e32 v21, v31, v21
	v_mul_f32_e32 v31, 0x3eedf032, v41
	s_delay_alu instid0(VALU_DEP_3) | instskip(SKIP_1) | instid1(VALU_DEP_3)
	v_add_f32_e32 v17, v17, v19
	v_fma_f32 v19, 0xbf3f9e67, v45, -v20
	v_dual_add_f32 v20, v27, v25 :: v_dual_fmamk_f32 v25, v45, 0x3f62ad3f, v31
	v_mul_f32_e32 v27, 0x3f62ad3f, v14
	v_fma_f32 v31, 0x3f62ad3f, v45, -v31
	s_delay_alu instid0(VALU_DEP_4) | instskip(SKIP_1) | instid1(VALU_DEP_4)
	v_add_f32_e32 v19, v19, v22
	v_dual_add_f32 v22, v43, v23 :: v_dual_mul_f32 v23, 0xbf7e222b, v41
	v_dual_add_f32 v25, v25, v28 :: v_dual_fmamk_f32 v28, v10, 0xbeedf032, v27
	s_delay_alu instid0(VALU_DEP_4) | instskip(NEXT) | instid1(VALU_DEP_3)
	v_add_f32_e32 v29, v31, v29
	v_fmamk_f32 v43, v45, 0x3df6dbef, v23
	v_fma_f32 v23, 0x3df6dbef, v45, -v23
	s_delay_alu instid0(VALU_DEP_4)
	v_add_f32_e32 v28, v28, v34
	v_mul_f32_e32 v34, 0x3e750f2a, v41
	v_mul_f32_e32 v41, 0x3f52af12, v41
	v_add_f32_e32 v31, v43, v35
	v_mul_f32_e32 v35, 0xbf788fa5, v14
	v_fmac_f32_e32 v27, 0x3eedf032, v10
	v_mul_f32_e32 v44, 0x3df6dbef, v14
	s_delay_alu instid0(VALU_DEP_3) | instskip(NEXT) | instid1(VALU_DEP_2)
	v_dual_add_f32 v23, v23, v30 :: v_dual_fmamk_f32 v30, v10, 0xbe750f2a, v35
	v_dual_add_f32 v27, v27, v32 :: v_dual_fmamk_f32 v32, v10, 0x3f7e222b, v44
	v_fmac_f32_e32 v35, 0x3e750f2a, v10
	v_fmac_f32_e32 v44, 0xbf7e222b, v10
	s_delay_alu instid0(VALU_DEP_4) | instskip(NEXT) | instid1(VALU_DEP_3)
	v_dual_add_f32 v30, v30, v33 :: v_dual_fmamk_f32 v33, v45, 0x3f116cb1, v41
	v_add_f32_e32 v35, v35, v38
	s_delay_alu instid0(VALU_DEP_2)
	v_dual_mul_f32 v14, 0x3f116cb1, v14 :: v_dual_add_f32 v33, v33, v39
	v_add_f32_e32 v39, v7, v15
	v_dual_sub_f32 v7, v7, v15 :: v_dual_add_f32 v32, v32, v36
	v_fmamk_f32 v36, v45, 0xbf788fa5, v34
	v_fma_f32 v34, 0xbf788fa5, v45, -v34
	v_fmamk_f32 v38, v10, 0xbf52af12, v14
	s_delay_alu instid0(VALU_DEP_3) | instskip(NEXT) | instid1(VALU_DEP_3)
	v_add_f32_e32 v36, v36, v40
	v_add_f32_e32 v34, v34, v37
	v_sub_f32_e32 v37, v8, v13
	v_add_f32_e32 v8, v8, v13
	v_fma_f32 v13, 0x3f116cb1, v45, -v41
	v_add_f32_e32 v26, v38, v26
	s_delay_alu instid0(VALU_DEP_4) | instskip(NEXT) | instid1(VALU_DEP_4)
	v_mul_f32_e32 v40, 0xbf29c268, v37
	v_mul_f32_e32 v15, 0xbf3f9e67, v8
	s_delay_alu instid0(VALU_DEP_4) | instskip(SKIP_1) | instid1(VALU_DEP_4)
	v_add_f32_e32 v13, v13, v18
	v_fmac_f32_e32 v14, 0x3f52af12, v10
	v_fmamk_f32 v10, v39, 0xbf3f9e67, v40
	v_fma_f32 v18, 0xbf3f9e67, v39, -v40
	s_delay_alu instid0(VALU_DEP_3) | instskip(NEXT) | instid1(VALU_DEP_3)
	v_add_f32_e32 v9, v14, v9
	v_add_f32_e32 v10, v10, v12
	v_fmamk_f32 v12, v7, 0x3f29c268, v15
	v_mul_f32_e32 v14, 0x3f7e222b, v37
	v_dual_fmac_f32 v15, 0xbf29c268, v7 :: v_dual_add_f32 v18, v18, v24
	v_mul_f32_e32 v38, 0x3df6dbef, v8
	s_delay_alu instid0(VALU_DEP_4) | instskip(NEXT) | instid1(VALU_DEP_4)
	v_add_f32_e32 v12, v12, v16
	v_fmamk_f32 v16, v39, 0x3df6dbef, v14
	s_delay_alu instid0(VALU_DEP_4) | instskip(SKIP_4) | instid1(VALU_DEP_3)
	v_add_f32_e32 v15, v15, v21
	v_fma_f32 v14, 0x3df6dbef, v39, -v14
	v_fmamk_f32 v21, v7, 0xbf7e222b, v38
	v_fmac_f32_e32 v38, 0x3f7e222b, v7
	v_add_f32_e32 v16, v16, v17
	v_dual_add_f32 v14, v14, v19 :: v_dual_add_f32 v17, v21, v20
	s_delay_alu instid0(VALU_DEP_3) | instskip(SKIP_2) | instid1(VALU_DEP_3)
	v_dual_add_f32 v19, v38, v22 :: v_dual_mul_f32 v24, 0xbf52af12, v37
	v_mul_f32_e32 v21, 0x3f116cb1, v8
	v_mul_f32_e32 v22, 0x3e750f2a, v37
	v_fmamk_f32 v20, v39, 0x3f116cb1, v24
	v_fma_f32 v24, 0x3f116cb1, v39, -v24
	s_delay_alu instid0(VALU_DEP_3) | instskip(SKIP_1) | instid1(VALU_DEP_4)
	v_fmamk_f32 v38, v39, 0xbf788fa5, v22
	v_fma_f32 v22, 0xbf788fa5, v39, -v22
	v_dual_add_f32 v20, v20, v25 :: v_dual_fmamk_f32 v25, v7, 0x3f52af12, v21
	s_delay_alu instid0(VALU_DEP_4) | instskip(NEXT) | instid1(VALU_DEP_3)
	v_dual_fmac_f32 v21, 0xbf52af12, v7 :: v_dual_add_f32 v24, v24, v29
	v_dual_mul_f32 v29, 0x3eedf032, v37 :: v_dual_add_f32 v22, v22, v23
	v_mul_f32_e32 v37, 0xbf6f5d39, v37
	s_delay_alu instid0(VALU_DEP_3) | instskip(SKIP_3) | instid1(VALU_DEP_2)
	v_add_f32_e32 v21, v21, v27
	v_add_f32_e32 v27, v38, v31
	v_dual_mul_f32 v31, 0x3f62ad3f, v8 :: v_dual_add_f32 v42, v44, v42
	v_add_f32_e32 v25, v25, v28
	v_fmamk_f32 v23, v7, 0xbeedf032, v31
	v_mul_f32_e32 v40, 0xbf788fa5, v8
	v_fmac_f32_e32 v31, 0x3eedf032, v7
	s_delay_alu instid0(VALU_DEP_3) | instskip(SKIP_1) | instid1(VALU_DEP_3)
	v_dual_mul_f32 v8, 0xbeb58ec6, v8 :: v_dual_add_f32 v23, v23, v30
	v_fmamk_f32 v30, v39, 0xbeb58ec6, v37
	v_add_f32_e32 v31, v31, v35
	v_fmamk_f32 v28, v7, 0xbe750f2a, v40
	s_delay_alu instid0(VALU_DEP_3) | instskip(SKIP_1) | instid1(VALU_DEP_1)
	v_dual_add_f32 v35, v3, v4 :: v_dual_add_f32 v30, v30, v33
	v_fmamk_f32 v33, v7, 0x3f6f5d39, v8
	v_dual_fmac_f32 v8, 0xbf6f5d39, v7 :: v_dual_add_f32 v33, v33, v26
	v_dual_fmac_f32 v40, 0x3e750f2a, v7 :: v_dual_sub_f32 v7, v3, v4
	v_add_f32_e32 v28, v28, v32
	v_fmamk_f32 v32, v39, 0x3f62ad3f, v29
	v_fma_f32 v29, 0x3f62ad3f, v39, -v29
	s_delay_alu instid0(VALU_DEP_4) | instskip(SKIP_1) | instid1(VALU_DEP_3)
	v_add_f32_e32 v38, v40, v42
	v_add_f32_e32 v40, v5, v6
	v_dual_add_f32 v32, v32, v36 :: v_dual_add_f32 v29, v29, v34
	v_sub_f32_e32 v34, v5, v6
	s_delay_alu instid0(VALU_DEP_3) | instskip(SKIP_2) | instid1(VALU_DEP_4)
	v_mul_f32_e32 v6, 0xbf788fa5, v40
	v_fma_f32 v5, 0xbeb58ec6, v39, -v37
	v_dual_add_f32 v39, v8, v9 :: v_dual_mul_f32 v26, 0x3f116cb1, v40
	v_mul_f32_e32 v36, 0xbe750f2a, v34
	s_delay_alu instid0(VALU_DEP_4) | instskip(SKIP_2) | instid1(VALU_DEP_3)
	v_fmamk_f32 v4, v7, 0x3e750f2a, v6
	v_mul_f32_e32 v9, 0x3eedf032, v34
	v_dual_fmac_f32 v6, 0xbe750f2a, v7 :: v_dual_add_f32 v37, v5, v13
	v_dual_fmamk_f32 v3, v35, 0xbf788fa5, v36 :: v_dual_add_f32 v4, v4, v12
	s_delay_alu instid0(VALU_DEP_3) | instskip(NEXT) | instid1(VALU_DEP_3)
	v_fmamk_f32 v8, v35, 0x3f62ad3f, v9
	v_dual_add_f32 v6, v6, v15 :: v_dual_mul_f32 v15, 0xbf29c268, v34
	s_delay_alu instid0(VALU_DEP_3) | instskip(NEXT) | instid1(VALU_DEP_3)
	v_dual_add_f32 v3, v3, v10 :: v_dual_mul_f32 v10, 0x3f62ad3f, v40
	v_add_f32_e32 v8, v8, v16
	v_fma_f32 v13, 0x3f62ad3f, v35, -v9
	s_delay_alu instid0(VALU_DEP_4) | instskip(SKIP_2) | instid1(VALU_DEP_2)
	v_fmamk_f32 v16, v35, 0xbf3f9e67, v15
	v_fma_f32 v5, 0xbf788fa5, v35, -v36
	v_fmamk_f32 v12, v7, 0xbeedf032, v10
	v_dual_fmac_f32 v10, 0x3eedf032, v7 :: v_dual_add_f32 v5, v5, v18
	s_delay_alu instid0(VALU_DEP_2) | instskip(SKIP_1) | instid1(VALU_DEP_3)
	v_add_f32_e32 v9, v12, v17
	v_dual_mul_f32 v17, 0xbf3f9e67, v40 :: v_dual_add_f32 v12, v13, v14
	v_dual_add_f32 v13, v10, v19 :: v_dual_mul_f32 v10, 0x3f52af12, v34
	v_add_f32_e32 v14, v16, v20
	s_delay_alu instid0(VALU_DEP_3)
	v_fmamk_f32 v16, v7, 0x3f29c268, v17
	v_fma_f32 v18, 0xbf3f9e67, v35, -v15
	v_fmac_f32_e32 v17, 0xbf29c268, v7
	v_fmamk_f32 v19, v35, 0x3f116cb1, v10
	v_fma_f32 v10, 0x3f116cb1, v35, -v10
	v_add_f32_e32 v15, v16, v25
	v_mul_f32_e32 v25, 0xbeb58ec6, v40
	v_add_f32_e32 v16, v18, v24
	v_add_f32_e32 v18, v19, v27
	v_dual_add_f32 v20, v10, v22 :: v_dual_fmamk_f32 v19, v7, 0xbf52af12, v26
	s_delay_alu instid0(VALU_DEP_4) | instskip(SKIP_2) | instid1(VALU_DEP_4)
	v_fmamk_f32 v10, v7, 0x3f6f5d39, v25
	v_dual_fmac_f32 v25, 0xbf6f5d39, v7 :: v_dual_mul_f32 v24, 0xbf6f5d39, v34
	v_dual_fmac_f32 v26, 0x3f52af12, v7 :: v_dual_add_f32 v17, v17, v21
	v_add_f32_e32 v19, v19, v28
	s_delay_alu instid0(VALU_DEP_4) | instskip(NEXT) | instid1(VALU_DEP_4)
	v_add_f32_e32 v23, v10, v23
	v_fmamk_f32 v27, v35, 0xbeb58ec6, v24
	s_delay_alu instid0(VALU_DEP_4) | instskip(SKIP_2) | instid1(VALU_DEP_4)
	v_add_f32_e32 v21, v26, v38
	v_mul_f32_e32 v26, 0x3f7e222b, v34
	v_fma_f32 v24, 0xbeb58ec6, v35, -v24
	v_dual_add_f32 v25, v25, v31 :: v_dual_add_f32 v22, v27, v32
	v_mul_f32_e32 v32, 0x3df6dbef, v40
	s_delay_alu instid0(VALU_DEP_4) | instskip(SKIP_1) | instid1(VALU_DEP_3)
	v_fmamk_f32 v10, v35, 0x3df6dbef, v26
	v_fma_f32 v28, 0x3df6dbef, v35, -v26
	v_dual_add_f32 v24, v24, v29 :: v_dual_fmamk_f32 v27, v7, 0xbf7e222b, v32
	v_fmac_f32_e32 v32, 0x3f7e222b, v7
	v_mul_hi_u32 v7, 0x15555556, v0
	v_add_f32_e32 v26, v10, v30
	v_add_f32_e32 v28, v28, v37
	;; [unrolled: 1-line block ×4, first 2 shown]
	ds_store_2addr_b64 v11, v[1:2], v[3:4] offset1:13
	ds_store_2addr_b64 v11, v[8:9], v[14:15] offset0:26 offset1:39
	ds_store_2addr_b64 v11, v[18:19], v[22:23] offset0:52 offset1:65
	;; [unrolled: 1-line block ×5, first 2 shown]
	ds_store_b64 v11, v[5:6] offset:1248
	v_mul_u32_u24_e32 v1, 12, v7
	global_wb scope:SCOPE_SE
	s_wait_dscnt 0x0
	s_barrier_signal -1
	s_barrier_wait -1
	global_inv scope:SCOPE_SE
	v_sub_nc_u32_e32 v8, v0, v1
	s_cbranch_vccnz .LBB0_10
; %bb.7:
	s_delay_alu instid0(VALU_DEP_1)
	v_mad_co_u64_u32 v[4:5], null, s8, v8, 0
	v_mov_b32_e32 v2, 0
	v_mul_lo_u32 v1, v7, s2
	s_mul_i32 s4, s2, 13
	s_lshl_b64 s[14:15], s[10:11], 3
	s_mov_b32 s3, 0
	s_add_nc_u64 s[14:15], s[0:1], s[14:15]
	s_delay_alu instid0(VALU_DEP_3) | instskip(SKIP_1) | instid1(VALU_DEP_2)
	v_mov_b32_e32 v3, v5
	s_mov_b32 s7, exec_lo
	v_lshlrev_b64_e32 v[19:20], 3, v[1:2]
	v_add_nc_u32_e32 v1, s4, v1
	s_delay_alu instid0(VALU_DEP_3) | instskip(SKIP_2) | instid1(VALU_DEP_4)
	v_mad_co_u64_u32 v[5:6], null, s9, v8, v[3:4]
	v_mul_i32_i24_e32 v3, 0x550, v8
	v_lshlrev_b32_e32 v6, 3, v7
	v_lshlrev_b64_e32 v[21:22], 3, v[1:2]
	v_add_nc_u32_e32 v1, s4, v1
	s_delay_alu instid0(VALU_DEP_3) | instskip(SKIP_1) | instid1(VALU_DEP_3)
	v_add3_u32 v3, 0, v3, v6
	v_lshlrev_b64_e32 v[4:5], 3, v[4:5]
	v_lshlrev_b64_e32 v[23:24], 3, v[1:2]
	ds_load_2addr_b64 v[11:14], v3 offset1:13
	ds_load_2addr_b64 v[15:18], v3 offset0:26 offset1:39
	v_add_nc_u32_e32 v1, s4, v1
	v_add_co_u32 v9, vcc_lo, s14, v4
	s_wait_alu 0xfffd
	v_add_co_ci_u32_e32 v10, vcc_lo, s15, v5, vcc_lo
	s_delay_alu instid0(VALU_DEP_3) | instskip(NEXT) | instid1(VALU_DEP_3)
	v_lshlrev_b64_e32 v[25:26], 3, v[1:2]
	v_add_co_u32 v4, vcc_lo, v9, v19
	s_wait_alu 0xfffd
	s_delay_alu instid0(VALU_DEP_3)
	v_add_co_ci_u32_e32 v5, vcc_lo, v10, v20, vcc_lo
	v_add_co_u32 v19, vcc_lo, v9, v21
	v_add_nc_u32_e32 v1, s4, v1
	s_wait_alu 0xfffd
	v_add_co_ci_u32_e32 v20, vcc_lo, v10, v22, vcc_lo
	v_add_co_u32 v21, vcc_lo, v9, v23
	s_wait_alu 0xfffd
	v_add_co_ci_u32_e32 v22, vcc_lo, v10, v24, vcc_lo
	s_wait_dscnt 0x1
	global_store_b64 v[4:5], v[11:12], off
	v_add_co_u32 v4, vcc_lo, v9, v25
	v_lshlrev_b64_e32 v[23:24], 3, v[1:2]
	v_add_nc_u32_e32 v1, s4, v1
	s_wait_alu 0xfffd
	v_add_co_ci_u32_e32 v5, vcc_lo, v10, v26, vcc_lo
	global_store_b64 v[19:20], v[13:14], off
	s_wait_dscnt 0x0
	s_clause 0x1
	global_store_b64 v[21:22], v[15:16], off
	global_store_b64 v[4:5], v[17:18], off
	v_lshlrev_b64_e32 v[4:5], 3, v[1:2]
	v_add_nc_u32_e32 v1, s4, v1
	ds_load_2addr_b64 v[11:14], v3 offset0:52 offset1:65
	v_add_co_u32 v23, vcc_lo, v9, v23
	ds_load_2addr_b64 v[15:18], v3 offset0:78 offset1:91
	v_lshlrev_b64_e32 v[19:20], 3, v[1:2]
	v_add_nc_u32_e32 v1, s4, v1
	s_wait_alu 0xfffd
	v_add_co_ci_u32_e32 v24, vcc_lo, v10, v24, vcc_lo
	v_add_co_u32 v4, vcc_lo, v9, v4
	s_delay_alu instid0(VALU_DEP_3)
	v_lshlrev_b64_e32 v[21:22], 3, v[1:2]
	s_wait_alu 0xfffd
	v_add_co_ci_u32_e32 v5, vcc_lo, v10, v5, vcc_lo
	v_add_co_u32 v25, vcc_lo, v9, v19
	s_wait_alu 0xfffd
	v_add_co_ci_u32_e32 v26, vcc_lo, v10, v20, vcc_lo
	v_add_nc_u32_e32 v1, s4, v1
	v_add_co_u32 v27, vcc_lo, v9, v21
	s_wait_alu 0xfffd
	v_add_co_ci_u32_e32 v28, vcc_lo, v10, v22, vcc_lo
	ds_load_2addr_b64 v[19:22], v3 offset0:104 offset1:117
	v_lshlrev_b64_e32 v[29:30], 3, v[1:2]
	v_add_nc_u32_e32 v1, s4, v1
	s_wait_dscnt 0x2
	s_clause 0x1
	global_store_b64 v[23:24], v[11:12], off
	global_store_b64 v[4:5], v[13:14], off
	s_wait_dscnt 0x1
	s_clause 0x1
	global_store_b64 v[25:26], v[15:16], off
	global_store_b64 v[27:28], v[17:18], off
	ds_load_2addr_b64 v[11:14], v3 offset0:130 offset1:143
	v_lshlrev_b64_e32 v[4:5], 3, v[1:2]
	v_add_co_u32 v15, vcc_lo, v9, v29
	s_wait_alu 0xfffd
	v_add_co_ci_u32_e32 v16, vcc_lo, v10, v30, vcc_lo
	v_add_nc_u32_e32 v1, s4, v1
	s_delay_alu instid0(VALU_DEP_4) | instskip(SKIP_2) | instid1(VALU_DEP_3)
	v_add_co_u32 v4, vcc_lo, v9, v4
	s_wait_alu 0xfffd
	v_add_co_ci_u32_e32 v5, vcc_lo, v10, v5, vcc_lo
	v_lshlrev_b64_e32 v[17:18], 3, v[1:2]
	v_add_nc_u32_e32 v1, s4, v1
	s_wait_dscnt 0x1
	s_clause 0x1
	global_store_b64 v[15:16], v[19:20], off
	global_store_b64 v[4:5], v[21:22], off
	ds_load_b64 v[4:5], v3 offset:1248
	v_lshlrev_b64_e32 v[15:16], 3, v[1:2]
	v_add_nc_u32_e32 v1, s4, v1
	v_add_co_u32 v17, vcc_lo, v9, v17
	s_wait_alu 0xfffd
	v_add_co_ci_u32_e32 v18, vcc_lo, v10, v18, vcc_lo
	s_delay_alu instid0(VALU_DEP_3) | instskip(SKIP_3) | instid1(VALU_DEP_3)
	v_lshlrev_b64_e32 v[19:20], 3, v[1:2]
	v_add_co_u32 v15, vcc_lo, v9, v15
	s_wait_alu 0xfffd
	v_add_co_ci_u32_e32 v16, vcc_lo, v10, v16, vcc_lo
	v_add_co_u32 v19, vcc_lo, v9, v19
	s_wait_alu 0xfffd
	v_add_co_ci_u32_e32 v20, vcc_lo, v10, v20, vcc_lo
	s_wait_dscnt 0x1
	s_clause 0x1
	global_store_b64 v[17:18], v[11:12], off
	global_store_b64 v[15:16], v[13:14], off
	s_wait_dscnt 0x0
	global_store_b64 v[19:20], v[4:5], off
                                        ; implicit-def: $vgpr4
                                        ; implicit-def: $vgpr5_vgpr6
	v_cmpx_gt_u32_e32 12, v0
	s_cbranch_execz .LBB0_9
; %bb.8:
	ds_load_b64 v[3:4], v3 offset:1352
	v_add_nc_u32_e32 v1, s4, v1
	s_mov_b32 s5, exec_lo
	s_delay_alu instid0(VALU_DEP_1) | instskip(NEXT) | instid1(VALU_DEP_1)
	v_lshlrev_b64_e32 v[1:2], 3, v[1:2]
	v_add_co_u32 v5, vcc_lo, v9, v1
	s_wait_alu 0xfffd
	s_delay_alu instid0(VALU_DEP_2)
	v_add_co_ci_u32_e32 v6, vcc_lo, v10, v2, vcc_lo
	s_wait_dscnt 0x0
	global_store_b32 v[5:6], v3, off
.LBB0_9:
	s_wait_alu 0xfffe
	s_or_b32 exec_lo, exec_lo, s7
	s_delay_alu instid0(SALU_CYCLE_1)
	s_and_b32 vcc_lo, exec_lo, s3
	s_wait_alu 0xfffe
	s_cbranch_vccnz .LBB0_11
	s_branch .LBB0_16
.LBB0_10:
                                        ; implicit-def: $vgpr4
                                        ; implicit-def: $vgpr5_vgpr6
	s_cbranch_execz .LBB0_16
.LBB0_11:
	s_delay_alu instid0(VALU_DEP_1) | instskip(SKIP_1) | instid1(VALU_DEP_1)
	v_add_nc_u32_e32 v1, s6, v8
	s_mov_b32 s3, exec_lo
                                        ; implicit-def: $vgpr4
                                        ; implicit-def: $vgpr5_vgpr6
	v_cmpx_gt_u32_e64 s12, v1
	s_cbranch_execz .LBB0_15
; %bb.12:
	v_mad_co_u64_u32 v[4:5], null, s8, v8, 0
	v_mov_b32_e32 v2, 0
	v_mul_lo_u32 v1, v7, s2
	s_mul_i32 s2, s2, 13
	s_lshl_b64 s[6:7], s[10:11], 3
	s_wait_alu 0xfffe
	s_add_nc_u64 s[0:1], s[0:1], s[6:7]
	s_delay_alu instid0(VALU_DEP_3) | instskip(NEXT) | instid1(VALU_DEP_2)
	v_mov_b32_e32 v3, v5
	v_lshlrev_b64_e32 v[17:18], 3, v[1:2]
	v_add_nc_u32_e32 v1, s2, v1
	s_delay_alu instid0(VALU_DEP_3) | instskip(SKIP_1) | instid1(VALU_DEP_3)
	v_mad_co_u64_u32 v[5:6], null, s9, v8, v[3:4]
	v_mad_i32_i24 v3, 0x550, v8, 0
	v_lshlrev_b64_e32 v[19:20], 3, v[1:2]
	v_add_nc_u32_e32 v1, s2, v1
	s_delay_alu instid0(VALU_DEP_3)
	v_lshl_add_u32 v6, v7, 3, v3
	v_lshlrev_b64_e32 v[4:5], 3, v[4:5]
	ds_load_2addr_b64 v[9:12], v6 offset1:13
	ds_load_2addr_b64 v[13:16], v6 offset0:26 offset1:39
	v_lshlrev_b64_e32 v[21:22], 3, v[1:2]
	v_add_co_u32 v7, vcc_lo, s0, v4
	s_wait_alu 0xfffd
	v_add_co_ci_u32_e32 v8, vcc_lo, s1, v5, vcc_lo
	v_add_nc_u32_e32 v1, s2, v1
	s_delay_alu instid0(VALU_DEP_3) | instskip(SKIP_1) | instid1(VALU_DEP_3)
	v_add_co_u32 v4, vcc_lo, v7, v17
	s_wait_alu 0xfffd
	v_add_co_ci_u32_e32 v5, vcc_lo, v8, v18, vcc_lo
	s_delay_alu instid0(VALU_DEP_3)
	v_lshlrev_b64_e32 v[23:24], 3, v[1:2]
	v_add_co_u32 v17, vcc_lo, v7, v19
	s_wait_alu 0xfffd
	v_add_co_ci_u32_e32 v18, vcc_lo, v8, v20, vcc_lo
	v_add_co_u32 v19, vcc_lo, v7, v21
	s_wait_alu 0xfffd
	v_add_co_ci_u32_e32 v20, vcc_lo, v8, v22, vcc_lo
	v_add_nc_u32_e32 v1, s2, v1
	s_wait_dscnt 0x1
	global_store_b64 v[4:5], v[9:10], off
	v_add_co_u32 v4, vcc_lo, v7, v23
	s_wait_alu 0xfffd
	v_add_co_ci_u32_e32 v5, vcc_lo, v8, v24, vcc_lo
	v_lshlrev_b64_e32 v[21:22], 3, v[1:2]
	v_add_nc_u32_e32 v1, s2, v1
	global_store_b64 v[17:18], v[11:12], off
	s_wait_dscnt 0x0
	s_clause 0x1
	global_store_b64 v[19:20], v[13:14], off
	global_store_b64 v[4:5], v[15:16], off
	ds_load_2addr_b64 v[9:12], v6 offset0:52 offset1:65
	ds_load_2addr_b64 v[13:16], v6 offset0:78 offset1:91
	s_mul_hi_u32 s0, s12, 0xaaaaaaab
	v_lshlrev_b64_e32 v[4:5], 3, v[1:2]
	v_add_nc_u32_e32 v1, s2, v1
	v_add_co_u32 v17, vcc_lo, v7, v21
	s_wait_alu 0xfffd
	v_add_co_ci_u32_e32 v18, vcc_lo, v8, v22, vcc_lo
	s_delay_alu instid0(VALU_DEP_3) | instskip(SKIP_4) | instid1(VALU_DEP_4)
	v_lshlrev_b64_e32 v[19:20], 3, v[1:2]
	v_add_co_u32 v4, vcc_lo, v7, v4
	s_wait_alu 0xfffd
	v_add_co_ci_u32_e32 v5, vcc_lo, v8, v5, vcc_lo
	v_add_nc_u32_e32 v1, s2, v1
	v_add_co_u32 v19, vcc_lo, v7, v19
	s_wait_alu 0xfffd
	v_add_co_ci_u32_e32 v20, vcc_lo, v8, v20, vcc_lo
	s_delay_alu instid0(VALU_DEP_3)
	v_lshlrev_b64_e32 v[21:22], 3, v[1:2]
	v_add_nc_u32_e32 v1, s2, v1
	s_wait_dscnt 0x1
	s_clause 0x1
	global_store_b64 v[17:18], v[9:10], off
	global_store_b64 v[4:5], v[11:12], off
	s_wait_dscnt 0x0
	global_store_b64 v[19:20], v[13:14], off
	ds_load_2addr_b64 v[9:12], v6 offset0:104 offset1:117
	s_wait_alu 0xfffe
	s_lshr_b32 s0, s0, 3
	s_mov_b32 s1, s5
	v_lshlrev_b64_e32 v[4:5], 3, v[1:2]
	v_add_nc_u32_e32 v1, s2, v1
	v_add_co_u32 v13, vcc_lo, v7, v21
	s_wait_alu 0xfffd
	v_add_co_ci_u32_e32 v14, vcc_lo, v8, v22, vcc_lo
	s_delay_alu instid0(VALU_DEP_3) | instskip(SKIP_4) | instid1(VALU_DEP_4)
	v_lshlrev_b64_e32 v[17:18], 3, v[1:2]
	v_add_co_u32 v4, vcc_lo, v7, v4
	v_add_nc_u32_e32 v1, s2, v1
	s_wait_alu 0xfffd
	v_add_co_ci_u32_e32 v5, vcc_lo, v8, v5, vcc_lo
	v_add_co_u32 v17, vcc_lo, v7, v17
	s_wait_alu 0xfffd
	v_add_co_ci_u32_e32 v18, vcc_lo, v8, v18, vcc_lo
	v_lshlrev_b64_e32 v[19:20], 3, v[1:2]
	v_add_nc_u32_e32 v1, s2, v1
	global_store_b64 v[13:14], v[15:16], off
	s_wait_dscnt 0x0
	s_clause 0x1
	global_store_b64 v[4:5], v[9:10], off
	global_store_b64 v[17:18], v[11:12], off
	ds_load_2addr_b64 v[9:12], v6 offset0:130 offset1:143
	ds_load_b64 v[13:14], v6 offset:1248
	s_wait_alu 0xfffe
	s_mul_i32 s0, s0, 12
	v_lshlrev_b64_e32 v[4:5], 3, v[1:2]
	v_add_nc_u32_e32 v1, s2, v1
	v_add_co_u32 v15, vcc_lo, v7, v19
	s_wait_alu 0xfffd
	v_add_co_ci_u32_e32 v16, vcc_lo, v8, v20, vcc_lo
	s_delay_alu instid0(VALU_DEP_3)
	v_lshlrev_b64_e32 v[17:18], 3, v[1:2]
	v_add_co_u32 v4, vcc_lo, v7, v4
	s_wait_alu 0xfffd
	v_add_co_ci_u32_e32 v5, vcc_lo, v8, v5, vcc_lo
	s_wait_alu 0xfffe
	s_sub_co_i32 s0, s12, s0
	v_add_co_u32 v17, vcc_lo, v7, v17
	s_wait_alu 0xfffd
	v_add_co_ci_u32_e32 v18, vcc_lo, v8, v18, vcc_lo
	s_wait_alu 0xfffe
	v_cmp_gt_u32_e32 vcc_lo, s0, v0
	s_wait_dscnt 0x1
	s_clause 0x1
	global_store_b64 v[15:16], v[9:10], off
	global_store_b64 v[4:5], v[11:12], off
                                        ; implicit-def: $vgpr4
                                        ; implicit-def: $vgpr5_vgpr6
	s_wait_dscnt 0x0
	global_store_b64 v[17:18], v[13:14], off
	s_and_saveexec_b32 s0, vcc_lo
	s_cbranch_execz .LBB0_14
; %bb.13:
	ds_load_b64 v[3:4], v3 offset:1352
	v_add_nc_u32_e32 v1, s2, v1
	s_or_b32 s1, s5, exec_lo
	s_delay_alu instid0(VALU_DEP_1) | instskip(NEXT) | instid1(VALU_DEP_1)
	v_lshlrev_b64_e32 v[0:1], 3, v[1:2]
	v_add_co_u32 v5, vcc_lo, v7, v0
	s_wait_alu 0xfffd
	s_delay_alu instid0(VALU_DEP_2)
	v_add_co_ci_u32_e32 v6, vcc_lo, v8, v1, vcc_lo
	s_wait_dscnt 0x0
	global_store_b32 v[5:6], v3, off
.LBB0_14:
	s_wait_alu 0xfffe
	s_or_b32 exec_lo, exec_lo, s0
	s_delay_alu instid0(SALU_CYCLE_1)
	s_and_not1_b32 s0, s5, exec_lo
	s_and_b32 s1, s1, exec_lo
	s_wait_alu 0xfffe
	s_or_b32 s5, s0, s1
.LBB0_15:
	s_wait_alu 0xfffe
	s_or_b32 exec_lo, exec_lo, s3
.LBB0_16:
	s_and_saveexec_b32 s0, s5
	s_cbranch_execnz .LBB0_18
; %bb.17:
	s_nop 0
	s_sendmsg sendmsg(MSG_DEALLOC_VGPRS)
	s_endpgm
.LBB0_18:
	global_store_b32 v[5:6], v4, off offset:4
	s_nop 0
	s_sendmsg sendmsg(MSG_DEALLOC_VGPRS)
	s_endpgm
	.section	.rodata,"a",@progbits
	.p2align	6, 0x0
	.amdhsa_kernel fft_rtc_back_len169_factors_13_13_wgs_156_tpt_13_sp_op_CI_CI_sbrc_erc_z_xy_unaligned
		.amdhsa_group_segment_fixed_size 0
		.amdhsa_private_segment_fixed_size 0
		.amdhsa_kernarg_size 104
		.amdhsa_user_sgpr_count 2
		.amdhsa_user_sgpr_dispatch_ptr 0
		.amdhsa_user_sgpr_queue_ptr 0
		.amdhsa_user_sgpr_kernarg_segment_ptr 1
		.amdhsa_user_sgpr_dispatch_id 0
		.amdhsa_user_sgpr_private_segment_size 0
		.amdhsa_wavefront_size32 1
		.amdhsa_uses_dynamic_stack 0
		.amdhsa_enable_private_segment 0
		.amdhsa_system_sgpr_workgroup_id_x 1
		.amdhsa_system_sgpr_workgroup_id_y 0
		.amdhsa_system_sgpr_workgroup_id_z 0
		.amdhsa_system_sgpr_workgroup_info 0
		.amdhsa_system_vgpr_workitem_id 0
		.amdhsa_next_free_vgpr 66
		.amdhsa_next_free_sgpr 30
		.amdhsa_reserve_vcc 1
		.amdhsa_float_round_mode_32 0
		.amdhsa_float_round_mode_16_64 0
		.amdhsa_float_denorm_mode_32 3
		.amdhsa_float_denorm_mode_16_64 3
		.amdhsa_fp16_overflow 0
		.amdhsa_workgroup_processor_mode 1
		.amdhsa_memory_ordered 1
		.amdhsa_forward_progress 0
		.amdhsa_round_robin_scheduling 0
		.amdhsa_exception_fp_ieee_invalid_op 0
		.amdhsa_exception_fp_denorm_src 0
		.amdhsa_exception_fp_ieee_div_zero 0
		.amdhsa_exception_fp_ieee_overflow 0
		.amdhsa_exception_fp_ieee_underflow 0
		.amdhsa_exception_fp_ieee_inexact 0
		.amdhsa_exception_int_div_zero 0
	.end_amdhsa_kernel
	.text
.Lfunc_end0:
	.size	fft_rtc_back_len169_factors_13_13_wgs_156_tpt_13_sp_op_CI_CI_sbrc_erc_z_xy_unaligned, .Lfunc_end0-fft_rtc_back_len169_factors_13_13_wgs_156_tpt_13_sp_op_CI_CI_sbrc_erc_z_xy_unaligned
                                        ; -- End function
	.section	.AMDGPU.csdata,"",@progbits
; Kernel info:
; codeLenInByte = 11584
; NumSgprs: 32
; NumVgprs: 66
; ScratchSize: 0
; MemoryBound: 0
; FloatMode: 240
; IeeeMode: 1
; LDSByteSize: 0 bytes/workgroup (compile time only)
; SGPRBlocks: 3
; VGPRBlocks: 8
; NumSGPRsForWavesPerEU: 32
; NumVGPRsForWavesPerEU: 66
; Occupancy: 15
; WaveLimiterHint : 1
; COMPUTE_PGM_RSRC2:SCRATCH_EN: 0
; COMPUTE_PGM_RSRC2:USER_SGPR: 2
; COMPUTE_PGM_RSRC2:TRAP_HANDLER: 0
; COMPUTE_PGM_RSRC2:TGID_X_EN: 1
; COMPUTE_PGM_RSRC2:TGID_Y_EN: 0
; COMPUTE_PGM_RSRC2:TGID_Z_EN: 0
; COMPUTE_PGM_RSRC2:TIDIG_COMP_CNT: 0
	.text
	.p2alignl 7, 3214868480
	.fill 96, 4, 3214868480
	.type	__hip_cuid_c5f050055cc661d4,@object ; @__hip_cuid_c5f050055cc661d4
	.section	.bss,"aw",@nobits
	.globl	__hip_cuid_c5f050055cc661d4
__hip_cuid_c5f050055cc661d4:
	.byte	0                               ; 0x0
	.size	__hip_cuid_c5f050055cc661d4, 1

	.ident	"AMD clang version 19.0.0git (https://github.com/RadeonOpenCompute/llvm-project roc-6.4.0 25133 c7fe45cf4b819c5991fe208aaa96edf142730f1d)"
	.section	".note.GNU-stack","",@progbits
	.addrsig
	.addrsig_sym __hip_cuid_c5f050055cc661d4
	.amdgpu_metadata
---
amdhsa.kernels:
  - .args:
      - .actual_access:  read_only
        .address_space:  global
        .offset:         0
        .size:           8
        .value_kind:     global_buffer
      - .offset:         8
        .size:           8
        .value_kind:     by_value
      - .actual_access:  read_only
        .address_space:  global
        .offset:         16
        .size:           8
        .value_kind:     global_buffer
      - .actual_access:  read_only
        .address_space:  global
        .offset:         24
        .size:           8
        .value_kind:     global_buffer
      - .actual_access:  read_only
        .address_space:  global
        .offset:         32
        .size:           8
        .value_kind:     global_buffer
      - .offset:         40
        .size:           8
        .value_kind:     by_value
      - .actual_access:  read_only
        .address_space:  global
        .offset:         48
        .size:           8
        .value_kind:     global_buffer
      - .actual_access:  read_only
        .address_space:  global
        .offset:         56
        .size:           8
        .value_kind:     global_buffer
      - .offset:         64
        .size:           4
        .value_kind:     by_value
      - .actual_access:  read_only
        .address_space:  global
        .offset:         72
        .size:           8
        .value_kind:     global_buffer
      - .actual_access:  read_only
        .address_space:  global
        .offset:         80
        .size:           8
        .value_kind:     global_buffer
      - .actual_access:  read_only
        .address_space:  global
        .offset:         88
        .size:           8
        .value_kind:     global_buffer
      - .actual_access:  write_only
        .address_space:  global
        .offset:         96
        .size:           8
        .value_kind:     global_buffer
    .group_segment_fixed_size: 0
    .kernarg_segment_align: 8
    .kernarg_segment_size: 104
    .language:       OpenCL C
    .language_version:
      - 2
      - 0
    .max_flat_workgroup_size: 156
    .name:           fft_rtc_back_len169_factors_13_13_wgs_156_tpt_13_sp_op_CI_CI_sbrc_erc_z_xy_unaligned
    .private_segment_fixed_size: 0
    .sgpr_count:     32
    .sgpr_spill_count: 0
    .symbol:         fft_rtc_back_len169_factors_13_13_wgs_156_tpt_13_sp_op_CI_CI_sbrc_erc_z_xy_unaligned.kd
    .uniform_work_group_size: 1
    .uses_dynamic_stack: false
    .vgpr_count:     66
    .vgpr_spill_count: 0
    .wavefront_size: 32
    .workgroup_processor_mode: 1
amdhsa.target:   amdgcn-amd-amdhsa--gfx1201
amdhsa.version:
  - 1
  - 2
...

	.end_amdgpu_metadata
